;; amdgpu-corpus repo=ROCm/aiter kind=harvested arch=n/a opt=n/a

/root/src/amdgpu-assembly/repos/ROCm__aiter/hsa/gfx950/fmoe/silu/fmoe_mxfp4_g1u1_vs_subGU_512.co:	file format elf64-amdgpu

Disassembly of section .text:

0000000000002b00 <_ZN5aiter28fmoe_mxfp4_g1u1_vs_subGU_512E>:
	s_and_b32 s1, s1, 0xffff                                   // 000000002B00: 8601FF01 0000FFFF
	s_load_dwordx2 s[8:9], s[0:1], 0x0                         // 000000002B08: C0060200 00000000
	s_load_dwordx2 s[20:21], s[0:1], 0x10                      // 000000002B10: C0060500 00000010
	s_load_dwordx2 s[24:25], s[0:1], 0x20                      // 000000002B18: C0060600 00000020
	s_load_dwordx2 s[50:51], s[0:1], 0x30                      // 000000002B20: C0060C80 00000030
	s_load_dwordx2 s[12:13], s[0:1], 0x40                      // 000000002B28: C0060300 00000040
	s_load_dwordx2 s[28:29], s[0:1], 0x50                      // 000000002B30: C0060700 00000050
	s_load_dwordx2 s[32:33], s[0:1], 0x60                      // 000000002B38: C0060800 00000060
	s_load_dwordx2 s[16:17], s[0:1], 0x70                      // 000000002B40: C0060400 00000070
	s_load_dwordx2 s[36:37], s[0:1], 0x80                      // 000000002B48: C0060900 00000080
	s_load_dwordx2 s[44:45], s[0:1], 0x90                      // 000000002B50: C0060B00 00000090
	s_load_dwordx2 s[40:41], s[0:1], 0xa0                      // 000000002B58: C0060A00 000000A0
	s_load_dwordx2 s[46:47], s[0:1], 0xb0                      // 000000002B60: C0060B80 000000B0
	s_load_dword s64, s[0:1], 0xc0                             // 000000002B68: C0021000 000000C0
	s_load_dword s65, s[0:1], 0xd0                             // 000000002B70: C0021040 000000D0
	s_load_dword s66, s[0:1], 0xe0                             // 000000002B78: C0021080 000000E0
	s_load_dword s67, s[0:1], 0xf0                             // 000000002B80: C00210C0 000000F0
	s_load_dword s68, s[0:1], 0x100                            // 000000002B88: C0021100 00000100
	s_load_dword s69, s[0:1], 0x110                            // 000000002B90: C0021140 00000110
	s_load_dword s70, s[0:1], 0x120                            // 000000002B98: C0021180 00000120
	s_load_dword s71, s[0:1], 0x130                            // 000000002BA0: C00211C0 00000130
	s_load_dword s72, s[0:1], 0x140                            // 000000002BA8: C0021200 00000140
	s_load_dword s73, s[0:1], 0x150                            // 000000002BB0: C0021240 00000150
	s_load_dword s74, s[0:1], 0x160                            // 000000002BB8: C0021280 00000160
	s_load_dword s75, s[0:1], 0x170                            // 000000002BC0: C00212C0 00000170
	s_load_dword s76, s[0:1], 0x180                            // 000000002BC8: C0021300 00000180
	v_lshrrev_b32_e32 v1, 10, v0                               // 000000002BD0: 2002008A
	v_lshrrev_b32_e32 v2, 10, v1                               // 000000002BD4: 2004028A
	v_and_b32_e32 v2, 0x3ff, v2                                // 000000002BD8: 260404FF 000003FF
	v_and_b32_e32 v1, 0x3ff, v1                                // 000000002BE0: 260202FF 000003FF
	v_and_b32_e32 v0, 0x3ff, v0                                // 000000002BE8: 260000FF 000003FF
	v_lshrrev_b32_e32 v3, 6, v0                                // 000000002BF0: 20060086
	v_and_b32_e32 v0, 63, v0                                   // 000000002BF4: 260000BF
	s_mov_b32 s2, s2                                           // 000000002BF8: BE820002
	s_mov_b32 s3, s3                                           // 000000002BFC: BE830003
	s_mov_b32 s4, s4                                           // 000000002C00: BE840004
	v_readfirstlane_b32 s7, v3                                 // 000000002C04: 7E0E0503
	s_waitcnt lgkmcnt(0)                                       // 000000002C08: BF8CC07F
	s_and_b32 s51, s51, 0xffff                                 // 000000002C0C: 8633FF33 0000FFFF
	s_load_dword s50, s[50:51], 0x0                            // 000000002C14: C0020C99 00000000
	s_and_b32 s45, s45, 0xffff                                 // 000000002C1C: 862DFF2D 0000FFFF
	s_and_b32 s47, s47, 0xffff                                 // 000000002C24: 862FFF2F 0000FFFF
	s_and_b32 s9, s9, 0xffff                                   // 000000002C2C: 8609FF09 0000FFFF
	s_mul_i32 s60, s66, s68                                    // 000000002C34: 923C4442
	s_mov_b32 s22, s60                                         // 000000002C38: BE96003C
	s_mov_b32 s26, -16                                         // 000000002C3C: BE9A00D0
	s_mov_b32 s14, -16                                         // 000000002C40: BE8E00D0
	s_mov_b32 s42, -16                                         // 000000002C44: BEAA00D0
	s_mov_b32 s30, -16                                         // 000000002C48: BE9E00D0
	s_mov_b32 s34, -16                                         // 000000002C4C: BEA200D0
	s_mov_b32 s38, -16                                         // 000000002C50: BEA600D0
	s_mov_b32 s18, -16                                         // 000000002C54: BE9200D0
	s_mul_i32 s60, s66, s71                                    // 000000002C58: 923C4742
	s_mov_b32 s10, s60                                         // 000000002C5C: BE8A003C
	s_mov_b32 s23, 0x20000                                     // 000000002C60: BE9700FF 00020000
	s_mov_b32 s27, 0x20000                                     // 000000002C68: BE9B00FF 00020000
	s_mov_b32 s15, 0x20000                                     // 000000002C70: BE8F00FF 00020000
	s_mov_b32 s43, 0x20000                                     // 000000002C78: BEAB00FF 00020000
	s_mov_b32 s31, 0x20000                                     // 000000002C80: BE9F00FF 00020000
	s_mov_b32 s35, 0x20000                                     // 000000002C88: BEA300FF 00020000
	s_mov_b32 s39, 0x20000                                     // 000000002C90: BEA700FF 00020000
	s_mov_b32 s19, 0x20000                                     // 000000002C98: BE9300FF 00020000
	s_mov_b32 s11, 0x20000                                     // 000000002CA0: BE8B00FF 00020000
	s_and_b32 s21, s21, 0xffff                                 // 000000002CA8: 8615FF15 0000FFFF
	s_and_b32 s25, s25, 0xffff                                 // 000000002CB0: 8619FF19 0000FFFF
	s_and_b32 s13, s13, 0xffff                                 // 000000002CB8: 860DFF0D 0000FFFF
	s_and_b32 s41, s41, 0xffff                                 // 000000002CC0: 8629FF29 0000FFFF
	s_and_b32 s29, s29, 0xffff                                 // 000000002CC8: 861DFF1D 0000FFFF
	s_and_b32 s33, s33, 0xffff                                 // 000000002CD0: 8621FF21 0000FFFF
	s_and_b32 s37, s37, 0xffff                                 // 000000002CD8: 8625FF25 0000FFFF
	s_and_b32 s17, s17, 0xffff                                 // 000000002CE0: 8611FF11 0000FFFF
	s_or_b32 s21, s21, 0x40000                                 // 000000002CE8: 8715FF15 00040000
	s_or_b32 s25, s25, 0x40000                                 // 000000002CF0: 8719FF19 00040000
	s_or_b32 s13, s13, 0x40000                                 // 000000002CF8: 870DFF0D 00040000
	s_or_b32 s41, s41, 0x40000                                 // 000000002D00: 8729FF29 00040000
	s_or_b32 s29, s29, 0x40000                                 // 000000002D08: 871DFF1D 00040000
	s_or_b32 s33, s33, 0x40000                                 // 000000002D10: 8721FF21 00040000
	s_or_b32 s37, s37, 0x40000                                 // 000000002D18: 8725FF25 00040000
	s_or_b32 s17, s17, 0x40000                                 // 000000002D20: 8711FF11 00040000
	v_accvgpr_write_b32 a127, 0                                // 000000002D28: D3D9407F 18000080
	v_mov_b32_e32 v223, 0                                      // 000000002D30: 7FBE0280
	s_waitcnt lgkmcnt(0)                                       // 000000002D34: BF8CC07F
	s_mul_i32 s60, s3, 32                                      // 000000002D38: 923CA003
	s_cmp_lt_i32 s60, s50                                      // 000000002D3C: BF04323C
	s_cbranch_scc0 label_1ABA                                  // 000000002D40: BF841A29
	s_mov_b32 s80, 0                                           // 000000002D44: BED00080
	s_mov_b32 s81, s64                                         // 000000002D48: BED10040
	s_mul_i32 s60, s3, 4                                       // 000000002D4C: 923C8403
	s_add_u32 s46, s60, s46                                    // 000000002D50: 802E2E3C
	s_addc_u32 s47, 0, s47                                     // 000000002D54: 822F2F80
	s_load_dword s5, s[46:47], 0x0                             // 000000002D58: C0020157 00000000
	s_mul_i32 s60, s3, 32                                      // 000000002D60: 923CA003
	s_lshr_b32 s61, s7, 1                                      // 000000002D64: 8F3D8107
	s_mul_i32 s61, s61, 8                                      // 000000002D68: 923D883D
	s_add_u32 s60, s61, s60                                    // 000000002D6C: 803C3C3D
	s_and_b32 s61, s7, 1                                       // 000000002D70: 863D8107
	s_mul_i32 s61, s61, 2                                      // 000000002D74: 923D823D
	s_add_u32 s60, s61, s60                                    // 000000002D78: 803C3C3D
	s_mul_i32 s60, 4, s60                                      // 000000002D7C: 923C3C84
	s_add_u32 s44, s60, s44                                    // 000000002D80: 802C2C3C
	s_addc_u32 s45, 0, s45                                     // 000000002D84: 822D2D80
	s_load_dword s82, s[44:45], 0x0                            // 000000002D88: C0021496 00000000
	s_load_dword s83, s[44:45], 0x4                            // 000000002D90: C00214D6 00000004
	s_load_dword s84, s[44:45], 0x10                           // 000000002D98: C0021516 00000010
	s_load_dword s85, s[44:45], 0x14                           // 000000002DA0: C0021556 00000014
	s_load_dword s86, s[44:45], 0x40                           // 000000002DA8: C0021596 00000040
	s_load_dword s87, s[44:45], 0x44                           // 000000002DB0: C00215D6 00000044
	s_load_dword s88, s[44:45], 0x50                           // 000000002DB8: C0021616 00000050
	s_load_dword s89, s[44:45], 0x54                           // 000000002DC0: C0021656 00000054
	s_waitcnt lgkmcnt(0)                                       // 000000002DC8: BF8CC07F
	s_and_b32 s82, s82, 0xffffff                               // 000000002DCC: 8652FF52 00FFFFFF
	s_mul_i32 s62, s82, s68                                    // 000000002DD4: 923E4452
	s_lshl_b32 s60, 0xff, 0                                    // 000000002DD8: 8E3C80FF 000000FF
	s_mov_b32 s61, 0                                           // 000000002DE0: BEBD0080
	s_mov_b64 exec, s[60:61]                                   // 000000002DE4: BEFE013C
	v_mov_b32_e32 v51, s62                                     // 000000002DE8: 7E66023E
	s_and_b32 s83, s83, 0xffffff                               // 000000002DEC: 8653FF53 00FFFFFF
	s_mul_i32 s62, s83, s68                                    // 000000002DF4: 923E4453
	s_lshl_b32 s60, 0xff, 8                                    // 000000002DF8: 8E3C88FF 000000FF
	s_mov_b64 exec, s[60:61]                                   // 000000002E00: BEFE013C
	v_mov_b32_e32 v51, s62                                     // 000000002E04: 7E66023E
	s_and_b32 s84, s84, 0xffffff                               // 000000002E08: 8654FF54 00FFFFFF
	s_mul_i32 s62, s84, s68                                    // 000000002E10: 923E4454
	s_lshl_b32 s60, 0xff, 16                                   // 000000002E14: 8E3C90FF 000000FF
	s_mov_b64 exec, s[60:61]                                   // 000000002E1C: BEFE013C
	v_mov_b32_e32 v51, s62                                     // 000000002E20: 7E66023E
	s_and_b32 s85, s85, 0xffffff                               // 000000002E24: 8655FF55 00FFFFFF
	s_mul_i32 s62, s85, s68                                    // 000000002E2C: 923E4455
	s_lshl_b32 s60, 0xff, 24                                   // 000000002E30: 8E3C98FF 000000FF
	s_mov_b64 exec, s[60:61]                                   // 000000002E38: BEFE013C
	v_mov_b32_e32 v51, s62                                     // 000000002E3C: 7E66023E
	s_and_b32 s86, s86, 0xffffff                               // 000000002E40: 8656FF56 00FFFFFF
	s_mul_i32 s62, s86, s68                                    // 000000002E48: 923E4456
	s_lshl_b32 s61, 0xff, 0                                    // 000000002E4C: 8E3D80FF 000000FF
	s_mov_b32 s60, 0                                           // 000000002E54: BEBC0080
	s_mov_b64 exec, s[60:61]                                   // 000000002E58: BEFE013C
	v_mov_b32_e32 v51, s62                                     // 000000002E5C: 7E66023E
	s_and_b32 s87, s87, 0xffffff                               // 000000002E60: 8657FF57 00FFFFFF
	s_mul_i32 s62, s87, s68                                    // 000000002E68: 923E4457
	s_lshl_b32 s61, 0xff, 8                                    // 000000002E6C: 8E3D88FF 000000FF
	s_mov_b64 exec, s[60:61]                                   // 000000002E74: BEFE013C
	v_mov_b32_e32 v51, s62                                     // 000000002E78: 7E66023E
	s_and_b32 s88, s88, 0xffffff                               // 000000002E7C: 8658FF58 00FFFFFF
	s_mul_i32 s62, s88, s68                                    // 000000002E84: 923E4458
	s_lshl_b32 s61, 0xff, 16                                   // 000000002E88: 8E3D90FF 000000FF
	s_mov_b64 exec, s[60:61]                                   // 000000002E90: BEFE013C
	v_mov_b32_e32 v51, s62                                     // 000000002E94: 7E66023E
	s_and_b32 s89, s89, 0xffffff                               // 000000002E98: 8659FF59 00FFFFFF
	s_mul_i32 s62, s89, s68                                    // 000000002EA0: 923E4459
	s_lshl_b32 s61, 0xff, 24                                   // 000000002EA4: 8E3D98FF 000000FF
	s_mov_b64 exec, s[60:61]                                   // 000000002EAC: BEFE013C
	v_mov_b32_e32 v51, s62                                     // 000000002EB0: 7E66023E
	s_mov_b32 s60, -1                                          // 000000002EB4: BEBC00C1
	s_mov_b32 s61, -1                                          // 000000002EB8: BEBD00C1
	s_mov_b64 exec, s[60:61]                                   // 000000002EBC: BEFE013C
	v_and_b32_e64 v2, v0, 7                                    // 000000002EC0: D1130002 00010F00
	v_lshlrev_b32_e32 v2, 4, v2                                // 000000002EC8: 24040484
	v_add_u32_e32 v51, v51, v2                                 // 000000002ECC: 68660533
	s_mov_b32 s62, 0x80                                        // 000000002ED0: BEBE00FF 00000080
	v_add_u32_e64 v52, v51, s62                                // 000000002ED8: D1340034 00007D33
	v_lshlrev_b32_e32 v2, 2, v0                                // 000000002EE0: 24040082
	s_mul_i32 s60, s82, s71                                    // 000000002EE4: 923C4752
	v_add_u32_e64 v144, v2, s60                                // 000000002EE8: D1340090 00007902
	v_mov_b32_e32 v145, 0                                      // 000000002EF0: 7F220280
	s_mul_i32 s60, s83, s71                                    // 000000002EF4: 923C4753
	v_add_u32_e64 v146, v2, s60                                // 000000002EF8: D1340092 00007902
	v_mov_b32_e32 v147, 0                                      // 000000002F00: 7F260280
	s_mul_i32 s60, s84, s71                                    // 000000002F04: 923C4754
	v_add_u32_e64 v148, v2, s60                                // 000000002F08: D1340094 00007902
	v_mov_b32_e32 v149, 0                                      // 000000002F10: 7F2A0280
	s_mul_i32 s60, s85, s71                                    // 000000002F14: 923C4755
	v_add_u32_e64 v150, v2, s60                                // 000000002F18: D1340096 00007902
	v_mov_b32_e32 v151, 0                                      // 000000002F20: 7F2E0280
	s_mul_i32 s60, s86, s71                                    // 000000002F24: 923C4756
	v_add_u32_e64 v152, v2, s60                                // 000000002F28: D1340098 00007902
	v_mov_b32_e32 v153, 0                                      // 000000002F30: 7F320280
	s_mul_i32 s60, s87, s71                                    // 000000002F34: 923C4757
	v_add_u32_e64 v154, v2, s60                                // 000000002F38: D134009A 00007902
	v_mov_b32_e32 v155, 0                                      // 000000002F40: 7F360280
	s_mul_i32 s60, s88, s71                                    // 000000002F44: 923C4758
	v_add_u32_e64 v156, v2, s60                                // 000000002F48: D134009C 00007902
	v_mov_b32_e32 v157, 0                                      // 000000002F50: 7F3A0280
	s_mul_i32 s60, s89, s71                                    // 000000002F54: 923C4759
	v_add_u32_e64 v158, v2, s60                                // 000000002F58: D134009E 00007902
	v_mov_b32_e32 v159, 0                                      // 000000002F60: 7F3E0280
	s_mul_i32 s60, s7, 0x420                                   // 000000002F64: 923CFF07 00000420
	s_add_u32 s50, 0, s60                                      // 000000002F6C: 80323C80
	s_add_u32 s51, 0x1080, s50                                 // 000000002F70: 803332FF 00001080
	v_and_b32_e32 v2, 15, v0                                   // 000000002F78: 2604008F
	v_lshrrev_b32_e32 v3, 3, v2                                // 000000002F7C: 20060483
	v_mul_lo_u32 v3, 2, v3                                     // 000000002F80: D2850003 00020682
	v_and_b32_e32 v2, 3, v0                                    // 000000002F88: 26040083
	v_lshrrev_b32_e32 v4, 1, v2                                // 000000002F8C: 20080481
	v_add_u32_e32 v2, v3, v4                                   // 000000002F90: 68040903
	v_mul_i32_i24_e32 v6, 0x420, v2                            // 000000002F94: 0C0C04FF 00000420
	v_and_b32_e32 v2, 7, v0                                    // 000000002F9C: 26040087
	v_lshrrev_b32_e32 v3, 2, v2                                // 000000002FA0: 20060482
	v_mul_i32_i24_e32 v3, 0x100, v3                            // 000000002FA4: 0C0606FF 00000100
	v_and_b32_e32 v2, 1, v0                                    // 000000002FAC: 26040081
	v_mul_i32_i24_e32 v4, 0x80, v2                             // 000000002FB0: 0C0804FF 00000080
	v_add_u32_e32 v6, v3, v6                                   // 000000002FB8: 680C0D03
	v_add_u32_e32 v6, v4, v6                                   // 000000002FBC: 680C0D04
	v_lshrrev_b32_e32 v2, 4, v0                                // 000000002FC0: 20040084
	v_mul_lo_u32 v2, 16, v2                                    // 000000002FC4: D2850002 00020490
	v_add_u32_e32 v6, v2, v6                                   // 000000002FCC: 680C0D02
	s_mul_i32 s60, s2, 0x200                                   // 000000002FD0: 923CFF02 00000200
	s_mul_i32 s60, s60, s69                                    // 000000002FD8: 923C453C
	s_mul_i32 s61, s5, s72                                     // 000000002FDC: 923D4805
	s_add_u32 s60, s61, s60                                    // 000000002FE0: 803C3C3D
	s_add_u32 s24, s60, s24                                    // 000000002FE4: 8018183C
	s_addc_u32 s25, 0, s25                                     // 000000002FE8: 82191980
	s_mul_i32 s60, s7, 32                                      // 000000002FEC: 923CA007
	s_mul_i32 s60, s60, s69                                    // 000000002FF0: 923C453C
	v_lshlrev_b32_e32 v52, 4, v0                               // 000000002FF4: 24680084
	v_add_u32_e32 v52, s60, v52                                // 000000002FF8: 6868683C
	s_mul_i32 s60, 16, s69                                     // 000000002FFC: 923C4590
	v_add_u32_e32 v53, s60, v52                                // 000000003000: 686A683C
	s_mul_i32 s60, 0x80, s69                                   // 000000003004: 923C45FF 00000080
	v_add_u32_e32 v54, s60, v52                                // 00000000300C: 686C683C
	v_add_u32_e32 v55, s60, v53                                // 000000003010: 686E6A3C
	v_add_u32_e32 v56, s60, v54                                // 000000003014: 68706C3C
	v_add_u32_e32 v57, s60, v55                                // 000000003018: 68726E3C
	v_add_u32_e32 v58, s60, v56                                // 00000000301C: 6874703C
	v_add_u32_e32 v59, s60, v57                                // 000000003020: 6876723C
	s_mov_b32 s92, s24                                         // 000000003024: BEDC0018
	s_mov_b32 s93, s25                                         // 000000003028: BEDD0019
	s_mov_b32 s94, s26                                         // 00000000302C: BEDE001A
	s_mov_b32 s95, s27                                         // 000000003030: BEDF001B
	s_mul_i32 s60, s69, s65                                    // 000000003034: 923C4145
	s_add_u32 s92, s60, s92                                    // 000000003038: 805C5C3C
	s_addc_u32 s93, 0, s93                                     // 00000000303C: 825D5D80
	s_mul_i32 s60, s2, 0x1000                                  // 000000003040: 923CFF02 00001000
	s_mul_i32 s61, s5, s73                                     // 000000003048: 923D4905
	s_add_u32 s60, s61, s60                                    // 00000000304C: 803C3C3D
	s_add_u32 s12, s60, s12                                    // 000000003050: 800C0C3C
	s_addc_u32 s13, 0, s13                                     // 000000003054: 820D0D80
	s_mul_i32 s60, s7, 32                                      // 000000003058: 923CA007
	s_mul_i32 s60, s60, s70                                    // 00000000305C: 923C463C
	v_lshlrev_b32_e32 v60, 4, v0                               // 000000003060: 24780084
	v_add_u32_e32 v60, s60, v60                                // 000000003064: 6878783C
	s_mul_i32 s60, 16, s70                                     // 000000003068: 923C4690
	v_add_u32_e32 v61, s60, v60                                // 00000000306C: 687A783C
	s_mul_i32 s60, 0x80, s70                                   // 000000003070: 923C46FF 00000080
	v_add_u32_e32 v62, s60, v60                                // 000000003078: 687C783C
	v_add_u32_e32 v63, s60, v61                                // 00000000307C: 687E7A3C
	s_mul_i32 s56, s70, 0x100                                  // 000000003080: 9238FF46 00000100
	s_mul_i32 s60, s3, 32                                      // 000000003088: 923CA003
	s_mul_i32 s60, 4, s60                                      // 00000000308C: 923C3C84
	s_add_u32 s40, s60, s40                                    // 000000003090: 8028283C
	s_addc_u32 s41, 0, s41                                     // 000000003094: 82292980
	v_and_b32_e32 v2, 15, v0                                   // 000000003098: 2604008F
	v_lshlrev_b32_e32 v13, 2, v2                               // 00000000309C: 241A0482
	v_add_u32_e32 v14, 64, v13                                 // 0000000030A0: 681C1AC0
	s_mov_b32 s4, 0x100                                        // 0000000030A4: BE8400FF 00000100
	v_lshlrev_b32_e32 v15, 2, v0                               // 0000000030AC: 241E0082
	s_lshr_b32 s61, s64, 5                                     // 0000000030B0: 8F3D8540
	s_mul_i32 s60, s7, 32                                      // 0000000030B4: 923CA007
	s_mul_i32 s60, s61, s60                                    // 0000000030B8: 923C3C3D
	v_add_u32_e64 v15, v15, s60                                // 0000000030BC: D134000F 0000790F
	s_mul_i32 s60, s65, s61                                    // 0000000030C4: 923C3D41
	v_add_u32_e64 v19, v15, s60                                // 0000000030C8: D1340013 0000790F
	s_mul_i32 s60, s61, 0x80                                   // 0000000030D0: 923CFF3D 00000080
	v_add_u32_e64 v16, v15, s60                                // 0000000030D8: D1340010 0000790F
	v_add_u32_e64 v20, v19, s60                                // 0000000030E0: D1340014 00007913
	v_add_u32_e64 v17, v16, s60                                // 0000000030E8: D1340011 00007910
	v_add_u32_e64 v21, v20, s60                                // 0000000030F0: D1340015 00007914
	v_add_u32_e64 v18, v17, s60                                // 0000000030F8: D1340012 00007911
	v_add_u32_e64 v22, v21, s60                                // 000000003100: D1340016 00007915
	s_mul_i32 s60, s2, 0x200                                   // 000000003108: 923CFF02 00000200
	s_mul_i32 s60, s60, s61                                    // 000000003110: 923C3D3C
	s_mul_i32 s61, s5, s74                                     // 000000003114: 923D4A05
	s_add_u32 s61, s61, s60                                    // 000000003118: 803D3C3D
	s_add_u32 s32, s61, s32                                    // 00000000311C: 8020203D
	s_addc_u32 s33, 0, s33                                     // 000000003120: 82212180
	v_lshlrev_b32_e32 v10, 2, v0                               // 000000003124: 24140082
	s_lshr_b32 s60, s65, 5                                     // 000000003128: 8F3C8541
	s_mul_i32 s61, s7, 32                                      // 00000000312C: 923DA007
	s_mul_i32 s61, s61, s60                                    // 000000003130: 923D3C3D
	v_add_u32_e32 v10, s61, v10                                // 000000003134: 6814143D
	s_mul_i32 s60, s60, 0x80                                   // 000000003138: 923CFF3C 00000080
	v_add_u32_e64 v11, v10, s60                                // 000000003140: D134000B 0000790A
	s_mul_i32 s60, s2, 0x200                                   // 000000003148: 923CFF02 00000200
	s_mul_i32 s61, s5, s75                                     // 000000003150: 923D4B05
	s_add_u32 s60, s60, s61                                    // 000000003154: 803C3D3C
	s_add_u32 s16, s60, s16                                    // 000000003158: 8010103C
	s_addc_u32 s17, 0, s17                                     // 00000000315C: 82111180
	s_mov_b32 s57, 0x80                                        // 000000003160: BEB900FF 00000080
	s_mov_b32 s58, 0x800                                       // 000000003168: BEBA00FF 00000800
	s_lshr_b32 s60, s65, 5                                     // 000000003170: 8F3C8541
	s_mul_i32 s79, s60, 0x100                                  // 000000003174: 924FFF3C 00000100
	s_mov_b32 s59, 0                                           // 00000000317C: BEBB0080
	s_mov_b32 s90, s58                                         // 000000003180: BEDA003A
	s_mov_b32 s52, 0x7060302                                   // 000000003184: BEB400FF 07060302
	s_mov_b32 s53, 0x400                                       // 00000000318C: BEB500FF 00000400
	s_mov_b32 s54, 0x40100                                     // 000000003194: BEB600FF 00040100
	s_mov_b32 s55, 0x4020100                                   // 00000000319C: BEB700FF 04020100
	s_mov_b32 s6, 0x3fb8aa3b                                   // 0000000031A4: BE8600FF 3FB8AA3B
	s_mov_b32 s77, 0xbd92220c                                  // 0000000031AC: BECD00FF BD92220C
	s_mov_b32 m0, s50                                          // 0000000031B4: BEFC0032
	s_mul_i32 s60, s3, 32                                      // 0000000031B8: 923CA003
	s_mul_i32 s60, s64, s60                                    // 0000000031BC: 923C3C40
	s_lshr_b32 s60, s60, 5                                     // 0000000031C0: 8F3C853C
	s_add_u32 s28, s60, s28                                    // 0000000031C4: 801C1C3C
	s_addc_u32 s29, 0, s29                                     // 0000000031C8: 821D1D80
	v_lshlrev_b32_e32 v12, 2, v0                               // 0000000031CC: 24180082
	s_mov_b32 s3, 0x100                                        // 0000000031D0: BE8300FF 00000100
	buffer_load_dword v25, v15, s[32:35], 0 offen              // 0000000031D8: E0501000 8008190F
	buffer_load_dword v26, v16, s[32:35], 0 offen              // 0000000031E0: E0501000 80081A10
	buffer_load_dword v27, v17, s[32:35], 0 offen              // 0000000031E8: E0501000 80081B11
	buffer_load_dword v28, v18, s[32:35], 0 offen              // 0000000031F0: E0501000 80081C12
	buffer_load_dword v41, v13, s[40:43], 0 offen              // 0000000031F8: E0501000 800A290D
	buffer_load_dword v42, v14, s[40:43], 0 offen              // 000000003200: E0501000 800A2A0E
	buffer_load_dwordx4 v51, s[20:23], 0 offen lds             // 000000003208: E05D1000 80050033
	s_add_u32 m0, 0, s51                                       // 000000003210: 807C3380
	buffer_load_dword v23, v12, s[28:31], 0 offen              // 000000003214: E0501000 8007170C
	s_add_u32 s20, s57, s20                                    // 00000000321C: 80141439
	s_addc_u32 s21, 0, s21                                     // 000000003220: 82151580
	s_add_u32 s28, s3, s28                                     // 000000003224: 801C1C03
	s_addc_u32 s29, 0, s29                                     // 000000003228: 821D1D80
	buffer_load_dwordx4 a[0:3], v52, s[24:27], 0 offen         // 00000000322C: E05C1000 80860034
	buffer_load_dwordx4 a[4:7], v53, s[24:27], 0 offen         // 000000003234: E05C1000 80860435
	buffer_load_dwordx4 a[8:11], v54, s[24:27], 0 offen        // 00000000323C: E05C1000 80860836
	buffer_load_dwordx4 a[12:15], v55, s[24:27], 0 offen       // 000000003244: E05C1000 80860C37
	buffer_load_dwordx4 a[16:19], v56, s[24:27], 0 offen       // 00000000324C: E05C1000 80861038
	buffer_load_dwordx4 a[20:23], v57, s[24:27], 0 offen       // 000000003254: E05C1000 80861439
	buffer_load_dwordx4 a[24:27], v58, s[24:27], 0 offen       // 00000000325C: E05C1000 8086183A
	buffer_load_dwordx4 a[28:31], v59, s[24:27], 0 offen       // 000000003264: E05C1000 80861C3B
	buffer_load_dwordx4 a[32:35], v52, s[24:27], 0 offen offset:1024// 00000000326C: E05C1400 80862034
	buffer_load_dwordx4 a[36:39], v53, s[24:27], 0 offen offset:1024// 000000003274: E05C1400 80862435
	buffer_load_dwordx4 a[40:43], v54, s[24:27], 0 offen offset:1024// 00000000327C: E05C1400 80862836
	buffer_load_dwordx4 a[44:47], v55, s[24:27], 0 offen offset:1024// 000000003284: E05C1400 80862C37
	buffer_load_dwordx4 a[48:51], v56, s[24:27], 0 offen offset:1024// 00000000328C: E05C1400 80863038
	buffer_load_dwordx4 a[52:55], v57, s[24:27], 0 offen offset:1024// 000000003294: E05C1400 80863439
	buffer_load_dwordx4 a[56:59], v58, s[24:27], 0 offen offset:1024// 00000000329C: E05C1400 8086383A
	buffer_load_dwordx4 a[60:63], v59, s[24:27], 0 offen offset:1024// 0000000032A4: E05C1400 80863C3B
	s_add_u32 s24, s58, s24                                    // 0000000032AC: 8018183A
	s_addc_u32 s25, 0, s25                                     // 0000000032B0: 82191980
	v_mov_b32_e32 v64, 0                                       // 0000000032B4: 7E800280
	v_mov_b32_e32 v128, 0                                      // 0000000032B8: 7F000280
	v_mov_b32_e32 v65, 0                                       // 0000000032BC: 7E820280
	v_mov_b32_e32 v129, 0                                      // 0000000032C0: 7F020280
	v_mov_b32_e32 v66, 0                                       // 0000000032C4: 7E840280
	v_mov_b32_e32 v130, 0                                      // 0000000032C8: 7F040280
	v_mov_b32_e32 v67, 0                                       // 0000000032CC: 7E860280
	v_mov_b32_e32 v131, 0                                      // 0000000032D0: 7F060280
	v_mov_b32_e32 v68, 0                                       // 0000000032D4: 7E880280
	v_mov_b32_e32 v132, 0                                      // 0000000032D8: 7F080280
	v_mov_b32_e32 v69, 0                                       // 0000000032DC: 7E8A0280
	v_mov_b32_e32 v133, 0                                      // 0000000032E0: 7F0A0280
	v_mov_b32_e32 v70, 0                                       // 0000000032E4: 7E8C0280
	v_mov_b32_e32 v134, 0                                      // 0000000032E8: 7F0C0280
	v_mov_b32_e32 v71, 0                                       // 0000000032EC: 7E8E0280
	v_mov_b32_e32 v135, 0                                      // 0000000032F0: 7F0E0280
	v_mov_b32_e32 v72, 0                                       // 0000000032F4: 7E900280
	v_mov_b32_e32 v136, 0                                      // 0000000032F8: 7F100280
	v_mov_b32_e32 v73, 0                                       // 0000000032FC: 7E920280
	v_mov_b32_e32 v137, 0                                      // 000000003300: 7F120280
	v_mov_b32_e32 v74, 0                                       // 000000003304: 7E940280
	v_mov_b32_e32 v138, 0                                      // 000000003308: 7F140280
	v_mov_b32_e32 v75, 0                                       // 00000000330C: 7E960280
	v_mov_b32_e32 v139, 0                                      // 000000003310: 7F160280
	v_mov_b32_e32 v76, 0                                       // 000000003314: 7E980280
	v_mov_b32_e32 v140, 0                                      // 000000003318: 7F180280
	v_mov_b32_e32 v77, 0                                       // 00000000331C: 7E9A0280
	v_mov_b32_e32 v141, 0                                      // 000000003320: 7F1A0280
	v_mov_b32_e32 v78, 0                                       // 000000003324: 7E9C0280
	v_mov_b32_e32 v142, 0                                      // 000000003328: 7F1C0280
	v_mov_b32_e32 v79, 0                                       // 00000000332C: 7E9E0280
	v_mov_b32_e32 v143, 0                                      // 000000003330: 7F1E0280
	v_mov_b32_e32 v80, 0                                       // 000000003334: 7EA00280
	v_mov_b32_e32 v144, 0                                      // 000000003338: 7F200280
	v_mov_b32_e32 v81, 0                                       // 00000000333C: 7EA20280
	v_mov_b32_e32 v145, 0                                      // 000000003340: 7F220280
	v_mov_b32_e32 v82, 0                                       // 000000003344: 7EA40280
	v_mov_b32_e32 v146, 0                                      // 000000003348: 7F240280
	v_mov_b32_e32 v83, 0                                       // 00000000334C: 7EA60280
	v_mov_b32_e32 v147, 0                                      // 000000003350: 7F260280
	v_mov_b32_e32 v84, 0                                       // 000000003354: 7EA80280
	v_mov_b32_e32 v148, 0                                      // 000000003358: 7F280280
	v_mov_b32_e32 v85, 0                                       // 00000000335C: 7EAA0280
	v_mov_b32_e32 v149, 0                                      // 000000003360: 7F2A0280
	v_mov_b32_e32 v86, 0                                       // 000000003364: 7EAC0280
	v_mov_b32_e32 v150, 0                                      // 000000003368: 7F2C0280
	v_mov_b32_e32 v87, 0                                       // 00000000336C: 7EAE0280
	v_mov_b32_e32 v151, 0                                      // 000000003370: 7F2E0280
	v_mov_b32_e32 v88, 0                                       // 000000003374: 7EB00280
	v_mov_b32_e32 v152, 0                                      // 000000003378: 7F300280
	v_mov_b32_e32 v89, 0                                       // 00000000337C: 7EB20280
	v_mov_b32_e32 v153, 0                                      // 000000003380: 7F320280
	v_mov_b32_e32 v90, 0                                       // 000000003384: 7EB40280
	v_mov_b32_e32 v154, 0                                      // 000000003388: 7F340280
	v_mov_b32_e32 v91, 0                                       // 00000000338C: 7EB60280
	v_mov_b32_e32 v155, 0                                      // 000000003390: 7F360280
	v_mov_b32_e32 v92, 0                                       // 000000003394: 7EB80280
	v_mov_b32_e32 v156, 0                                      // 000000003398: 7F380280
	v_mov_b32_e32 v93, 0                                       // 00000000339C: 7EBA0280
	v_mov_b32_e32 v157, 0                                      // 0000000033A0: 7F3A0280
	v_mov_b32_e32 v94, 0                                       // 0000000033A4: 7EBC0280
	v_mov_b32_e32 v158, 0                                      // 0000000033A8: 7F3C0280
	v_mov_b32_e32 v95, 0                                       // 0000000033AC: 7EBE0280
	v_mov_b32_e32 v159, 0                                      // 0000000033B0: 7F3E0280
	v_mov_b32_e32 v96, 0                                       // 0000000033B4: 7EC00280
	v_mov_b32_e32 v160, 0                                      // 0000000033B8: 7F400280
	v_mov_b32_e32 v97, 0                                       // 0000000033BC: 7EC20280
	v_mov_b32_e32 v161, 0                                      // 0000000033C0: 7F420280
	v_mov_b32_e32 v98, 0                                       // 0000000033C4: 7EC40280
	v_mov_b32_e32 v162, 0                                      // 0000000033C8: 7F440280
	v_mov_b32_e32 v99, 0                                       // 0000000033CC: 7EC60280
	v_mov_b32_e32 v163, 0                                      // 0000000033D0: 7F460280
	v_mov_b32_e32 v100, 0                                      // 0000000033D4: 7EC80280
	v_mov_b32_e32 v164, 0                                      // 0000000033D8: 7F480280
	v_mov_b32_e32 v101, 0                                      // 0000000033DC: 7ECA0280
	v_mov_b32_e32 v165, 0                                      // 0000000033E0: 7F4A0280
	v_mov_b32_e32 v102, 0                                      // 0000000033E4: 7ECC0280
	v_mov_b32_e32 v166, 0                                      // 0000000033E8: 7F4C0280
	v_mov_b32_e32 v103, 0                                      // 0000000033EC: 7ECE0280
	v_mov_b32_e32 v167, 0                                      // 0000000033F0: 7F4E0280
	v_mov_b32_e32 v104, 0                                      // 0000000033F4: 7ED00280
	v_mov_b32_e32 v168, 0                                      // 0000000033F8: 7F500280
	v_mov_b32_e32 v105, 0                                      // 0000000033FC: 7ED20280
	v_mov_b32_e32 v169, 0                                      // 000000003400: 7F520280
	v_mov_b32_e32 v106, 0                                      // 000000003404: 7ED40280
	v_mov_b32_e32 v170, 0                                      // 000000003408: 7F540280
	v_mov_b32_e32 v107, 0                                      // 00000000340C: 7ED60280
	v_mov_b32_e32 v171, 0                                      // 000000003410: 7F560280
	v_mov_b32_e32 v108, 0                                      // 000000003414: 7ED80280
	v_mov_b32_e32 v172, 0                                      // 000000003418: 7F580280
	v_mov_b32_e32 v109, 0                                      // 00000000341C: 7EDA0280
	v_mov_b32_e32 v173, 0                                      // 000000003420: 7F5A0280
	v_mov_b32_e32 v110, 0                                      // 000000003424: 7EDC0280
	v_mov_b32_e32 v174, 0                                      // 000000003428: 7F5C0280
	v_mov_b32_e32 v111, 0                                      // 00000000342C: 7EDE0280
	v_mov_b32_e32 v175, 0                                      // 000000003430: 7F5E0280
	v_mov_b32_e32 v112, 0                                      // 000000003434: 7EE00280
	v_mov_b32_e32 v176, 0                                      // 000000003438: 7F600280
	v_mov_b32_e32 v113, 0                                      // 00000000343C: 7EE20280
	v_mov_b32_e32 v177, 0                                      // 000000003440: 7F620280
	v_mov_b32_e32 v114, 0                                      // 000000003444: 7EE40280
	v_mov_b32_e32 v178, 0                                      // 000000003448: 7F640280
	v_mov_b32_e32 v115, 0                                      // 00000000344C: 7EE60280
	v_mov_b32_e32 v179, 0                                      // 000000003450: 7F660280
	v_mov_b32_e32 v116, 0                                      // 000000003454: 7EE80280
	v_mov_b32_e32 v180, 0                                      // 000000003458: 7F680280
	v_mov_b32_e32 v117, 0                                      // 00000000345C: 7EEA0280
	v_mov_b32_e32 v181, 0                                      // 000000003460: 7F6A0280
	v_mov_b32_e32 v118, 0                                      // 000000003464: 7EEC0280
	v_mov_b32_e32 v182, 0                                      // 000000003468: 7F6C0280
	v_mov_b32_e32 v119, 0                                      // 00000000346C: 7EEE0280
	v_mov_b32_e32 v183, 0                                      // 000000003470: 7F6E0280
	v_mov_b32_e32 v120, 0                                      // 000000003474: 7EF00280
	v_mov_b32_e32 v184, 0                                      // 000000003478: 7F700280
	v_mov_b32_e32 v121, 0                                      // 00000000347C: 7EF20280
	v_mov_b32_e32 v185, 0                                      // 000000003480: 7F720280
	v_mov_b32_e32 v122, 0                                      // 000000003484: 7EF40280
	v_mov_b32_e32 v186, 0                                      // 000000003488: 7F740280
	v_mov_b32_e32 v123, 0                                      // 00000000348C: 7EF60280
	v_mov_b32_e32 v187, 0                                      // 000000003490: 7F760280
	v_mov_b32_e32 v124, 0                                      // 000000003494: 7EF80280
	v_mov_b32_e32 v188, 0                                      // 000000003498: 7F780280
	v_mov_b32_e32 v125, 0                                      // 00000000349C: 7EFA0280
	v_mov_b32_e32 v189, 0                                      // 0000000034A0: 7F7A0280
	v_mov_b32_e32 v126, 0                                      // 0000000034A4: 7EFC0280
	v_mov_b32_e32 v190, 0                                      // 0000000034A8: 7F7C0280
	v_mov_b32_e32 v127, 0                                      // 0000000034AC: 7EFE0280
	v_mov_b32_e32 v191, 0                                      // 0000000034B0: 7F7E0280
	v_lshrrev_b32_e32 v2, 4, v0                                // 0000000034B4: 20040084
	v_mul_lo_u32 v8, 34, v2                                    // 0000000034B8: D2850008 000204A2
	v_and_b32_e32 v2, 15, v0                                   // 0000000034C0: 2604008F
	v_mul_lo_u32 v3, 2, v2                                     // 0000000034C4: D2850003 00020482
	v_add_u32_e32 v8, v3, v8                                   // 0000000034CC: 68101103
	s_mul_i32 s60, s7, 0x110                                   // 0000000034D0: 923CFF07 00000110
	v_add_u32_e32 v8, s60, v8                                  // 0000000034D8: 6810103C
	v_lshlrev_b32_e32 v8, 2, v8                                // 0000000034DC: 24101082
	v_lshrrev_b32_e32 v2, 1, v0                                // 0000000034E0: 20040081
	v_mul_lo_u32 v9, 34, v2                                    // 0000000034E4: D2850009 000204A2
	v_and_b32_e32 v3, 1, v0                                    // 0000000034EC: 26060081
	v_add_u32_e32 v9, v3, v9                                   // 0000000034F0: 68121303
	s_lshr_b32 s60, s7, 1                                      // 0000000034F4: 8F3C8107
	s_mul_i32 s60, s60, 8                                      // 0000000034F8: 923C883C
	s_and_b32 s61, s7, 1                                       // 0000000034FC: 863D8107
	s_mul_i32 s61, s61, 2                                      // 000000003500: 923D823D
	s_add_u32 s60, s61, s60                                    // 000000003504: 803C3C3D
	s_mul_i32 s60, 2, s60                                      // 000000003508: 923C3C82
	v_add_u32_e32 v9, s60, v9                                  // 00000000350C: 6812123C
	v_lshlrev_b32_e32 v9, 2, v9                                // 000000003510: 24121282
	s_waitcnt vmcnt(16)                                        // 000000003514: BF8C4F70
	s_barrier                                                  // 000000003518: BF8A0000
	ds_read_b128 v[192:195], v6                                // 00000000351C: D9FE0000 C0000006
	ds_read_b128 v[196:199], v6 offset:64                      // 000000003524: D9FE0040 C4000006
	ds_read_b128 v[200:203], v6 offset:512                     // 00000000352C: D9FE0200 C8000006
	ds_read_b128 v[204:207], v6 offset:576                     // 000000003534: D9FE0240 CC000006
	s_cmp_lt_i32 s7, 2                                         // 00000000353C: BF048207
	s_cbranch_scc0 label_0DFE                                  // 000000003540: BF840B6D

0000000000003544 <label_0291>:
	s_waitcnt vmcnt(14) lgkmcnt(0)                             // 000000003544: BF8C007E
	s_barrier                                                  // 000000003548: BF8A0000
	v_mfma_scale_f32_16x16x128_f8f6f4 v[64:67], a[0:3], v[192:195], v[64:67], v25, v23 op_sel_hi:[0,0,0] cbsz:4 blgp:4// 00000000354C: D3AC6000 00022F19 D3AD0C40 8D038100
	v_mfma_scale_f32_16x16x128_f8f6f4 v[96:99], a[0:3], v[200:203], v[96:99], v25, v23 op_sel_hi:[0,0,0] cbsz:4 blgp:4// 00000000355C: D3AC7000 00022F19 D3AD0C60 8D839100
	buffer_load_dwordx4 a[64:67], v52, s[92:95], 0 offen       // 00000000356C: E05C1000 80974034
	buffer_load_dwordx4 v51, s[20:23], 0 offen lds             // 000000003574: E05D1000 80050033
	s_add_u32 m0, 0, s50                                       // 00000000357C: 807C3280
	v_mfma_scale_f32_16x16x128_f8f6f4 v[68:71], a[4:7], v[192:195], v[68:71], v25, v23 op_sel_hi:[0,0,0] cbsz:4 blgp:4// 000000003580: D3AC6800 00022F19 D3AD0C44 8D138104
	v_mfma_scale_f32_16x16x128_f8f6f4 v[100:103], a[4:7], v[200:203], v[100:103], v25, v23 op_sel_hi:[0,0,0] cbsz:4 blgp:4// 000000003590: D3AC7800 00022F19 D3AD0C64 8D939104
	buffer_load_dwordx4 a[68:71], v53, s[92:95], 0 offen       // 0000000035A0: E05C1000 80974435
	buffer_load_dword v24, v12, s[28:31], 0 offen              // 0000000035A8: E0501000 8007180C
	buffer_load_dword v33, v19, s[32:35], 0 offen              // 0000000035B0: E0501000 80082113
	buffer_load_dword v34, v20, s[32:35], 0 offen              // 0000000035B8: E0501000 80082214
	buffer_load_dword v35, v21, s[32:35], 0 offen              // 0000000035C0: E0501000 80082315
	buffer_load_dword v36, v22, s[32:35], 0 offen              // 0000000035C8: E0501000 80082416
	s_waitcnt vmcnt(20)                                        // 0000000035D0: BF8C4F74
	v_mfma_scale_f32_16x16x128_f8f6f4 v[72:75], a[8:11], v[192:195], v[72:75], v26, v23 op_sel_hi:[0,0,0] cbsz:4 blgp:4// 0000000035D4: D3AC6000 00022F1A D3AD0C48 8D238108
	v_mfma_scale_f32_16x16x128_f8f6f4 v[104:107], a[8:11], v[200:203], v[104:107], v26, v23 op_sel_hi:[0,0,0] cbsz:4 blgp:4// 0000000035E4: D3AC7000 00022F1A D3AD0C68 8DA39108
	buffer_load_dwordx4 a[72:75], v54, s[92:95], 0 offen       // 0000000035F4: E05C1000 80974836
	v_mfma_scale_f32_16x16x128_f8f6f4 v[76:79], a[12:15], v[192:195], v[76:79], v26, v23 op_sel_hi:[0,0,0] cbsz:4 blgp:4// 0000000035FC: D3AC6800 00022F1A D3AD0C4C 8D33810C
	v_mfma_scale_f32_16x16x128_f8f6f4 v[108:111], a[12:15], v[200:203], v[108:111], v26, v23 op_sel_hi:[0,0,0] cbsz:4 blgp:4// 00000000360C: D3AC7800 00022F1A D3AD0C6C 8DB3910C
	buffer_load_dwordx4 a[76:79], v55, s[92:95], 0 offen       // 00000000361C: E05C1000 80974C37
	s_waitcnt vmcnt(20)                                        // 000000003624: BF8C4F74
	v_mfma_scale_f32_16x16x128_f8f6f4 v[80:83], a[16:19], v[192:195], v[80:83], v27, v23 op_sel_hi:[0,0,0] cbsz:4 blgp:4// 000000003628: D3AC6000 00022F1B D3AD0C50 8D438110
	v_mfma_scale_f32_16x16x128_f8f6f4 v[112:115], a[16:19], v[200:203], v[112:115], v27, v23 op_sel_hi:[0,0,0] cbsz:4 blgp:4// 000000003638: D3AC7000 00022F1B D3AD0C70 8DC39110
	buffer_load_dwordx4 a[80:83], v56, s[92:95], 0 offen       // 000000003648: E05C1000 80975038
	v_mfma_scale_f32_16x16x128_f8f6f4 v[84:87], a[20:23], v[192:195], v[84:87], v27, v23 op_sel_hi:[0,0,0] cbsz:4 blgp:4// 000000003650: D3AC6800 00022F1B D3AD0C54 8D538114
	v_mfma_scale_f32_16x16x128_f8f6f4 v[116:119], a[20:23], v[200:203], v[116:119], v27, v23 op_sel_hi:[0,0,0] cbsz:4 blgp:4// 000000003660: D3AC7800 00022F1B D3AD0C74 8DD39114
	buffer_load_dwordx4 a[84:87], v57, s[92:95], 0 offen       // 000000003670: E05C1000 80975439
	s_waitcnt vmcnt(20)                                        // 000000003678: BF8C4F74
	v_mfma_scale_f32_16x16x128_f8f6f4 v[88:91], a[24:27], v[192:195], v[88:91], v28, v23 op_sel_hi:[0,0,0] cbsz:4 blgp:4// 00000000367C: D3AC6000 00022F1C D3AD0C58 8D638118
	v_mfma_scale_f32_16x16x128_f8f6f4 v[120:123], a[24:27], v[200:203], v[120:123], v28, v23 op_sel_hi:[0,0,0] cbsz:4 blgp:4// 00000000368C: D3AC7000 00022F1C D3AD0C78 8DE39118
	buffer_load_dwordx4 a[88:91], v58, s[92:95], 0 offen       // 00000000369C: E05C1000 8097583A
	v_mfma_scale_f32_16x16x128_f8f6f4 v[92:95], a[28:31], v[192:195], v[92:95], v28, v23 op_sel_hi:[0,0,0] cbsz:4 blgp:4// 0000000036A4: D3AC6800 00022F1C D3AD0C5C 8D73811C
	v_mfma_scale_f32_16x16x128_f8f6f4 v[124:127], a[28:31], v[200:203], v[124:127], v28, v23 op_sel_hi:[0,0,0] cbsz:4 blgp:4// 0000000036B4: D3AC7800 00022F1C D3AD0C7C 8DF3911C
	buffer_load_dwordx4 a[92:95], v59, s[92:95], 0 offen       // 0000000036C4: E05C1000 80975C3B
	s_nop 0                                                    // 0000000036CC: BF800000
	s_waitcnt vmcnt(20)                                        // 0000000036D0: BF8C4F74
	v_mfma_scale_f32_16x16x128_f8f6f4 v[64:67], a[32:35], v[196:199], v[64:67], v25, v23 op_sel_hi:[0,0,0] cbsz:4 blgp:4// 0000000036D4: D3AC6000 18022F19 D3AD0C40 8D038920
	v_mfma_scale_f32_16x16x128_f8f6f4 v[96:99], a[32:35], v[204:207], v[96:99], v25, v23 op_sel_hi:[0,0,0] cbsz:4 blgp:4// 0000000036E4: D3AC7000 18022F19 D3AD0C60 8D839920
	buffer_load_dwordx4 a[96:99], v52, s[92:95], 0 offen offset:1024// 0000000036F4: E05C1400 80976034
	v_mfma_scale_f32_16x16x128_f8f6f4 v[68:71], a[36:39], v[196:199], v[68:71], v25, v23 op_sel_hi:[0,0,0] cbsz:4 blgp:4// 0000000036FC: D3AC6800 18022F19 D3AD0C44 8D138924
	v_mfma_scale_f32_16x16x128_f8f6f4 v[100:103], a[36:39], v[204:207], v[100:103], v25, v23 op_sel_hi:[0,0,0] cbsz:4 blgp:4// 00000000370C: D3AC7800 18022F19 D3AD0C64 8D939924
	buffer_load_dwordx4 a[100:103], v53, s[92:95], 0 offen offset:1024// 00000000371C: E05C1400 80976435
	s_waitcnt vmcnt(20)                                        // 000000003724: BF8C4F74
	v_mfma_scale_f32_16x16x128_f8f6f4 v[72:75], a[40:43], v[196:199], v[72:75], v26, v23 op_sel_hi:[0,0,0] cbsz:4 blgp:4// 000000003728: D3AC6000 18022F1A D3AD0C48 8D238928
	v_mfma_scale_f32_16x16x128_f8f6f4 v[104:107], a[40:43], v[204:207], v[104:107], v26, v23 op_sel_hi:[0,0,0] cbsz:4 blgp:4// 000000003738: D3AC7000 18022F1A D3AD0C68 8DA39928
	buffer_load_dwordx4 a[104:107], v54, s[92:95], 0 offen offset:1024// 000000003748: E05C1400 80976836
	v_mfma_scale_f32_16x16x128_f8f6f4 v[76:79], a[44:47], v[196:199], v[76:79], v26, v23 op_sel_hi:[0,0,0] cbsz:4 blgp:4// 000000003750: D3AC6800 18022F1A D3AD0C4C 8D33892C
	v_mfma_scale_f32_16x16x128_f8f6f4 v[108:111], a[44:47], v[204:207], v[108:111], v26, v23 op_sel_hi:[0,0,0] cbsz:4 blgp:4// 000000003760: D3AC7800 18022F1A D3AD0C6C 8DB3992C
	buffer_load_dwordx4 a[108:111], v55, s[92:95], 0 offen offset:1024// 000000003770: E05C1400 80976C37
	s_waitcnt vmcnt(20)                                        // 000000003778: BF8C4F74
	v_mfma_scale_f32_16x16x128_f8f6f4 v[80:83], a[48:51], v[196:199], v[80:83], v27, v23 op_sel_hi:[0,0,0] cbsz:4 blgp:4// 00000000377C: D3AC6000 18022F1B D3AD0C50 8D438930
	v_mfma_scale_f32_16x16x128_f8f6f4 v[112:115], a[48:51], v[204:207], v[112:115], v27, v23 op_sel_hi:[0,0,0] cbsz:4 blgp:4// 00000000378C: D3AC7000 18022F1B D3AD0C70 8DC39930
	buffer_load_dwordx4 a[112:115], v56, s[92:95], 0 offen offset:1024// 00000000379C: E05C1400 80977038
	v_mfma_scale_f32_16x16x128_f8f6f4 v[84:87], a[52:55], v[196:199], v[84:87], v27, v23 op_sel_hi:[0,0,0] cbsz:4 blgp:4// 0000000037A4: D3AC6800 18022F1B D3AD0C54 8D538934
	v_mfma_scale_f32_16x16x128_f8f6f4 v[116:119], a[52:55], v[204:207], v[116:119], v27, v23 op_sel_hi:[0,0,0] cbsz:4 blgp:4// 0000000037B4: D3AC7800 18022F1B D3AD0C74 8DD39934
	buffer_load_dwordx4 a[116:119], v57, s[92:95], 0 offen offset:1024// 0000000037C4: E05C1400 80977439
	s_waitcnt vmcnt(20)                                        // 0000000037CC: BF8C4F74
	v_mfma_scale_f32_16x16x128_f8f6f4 v[88:91], a[56:59], v[196:199], v[88:91], v28, v23 op_sel_hi:[0,0,0] cbsz:4 blgp:4// 0000000037D0: D3AC6000 18022F1C D3AD0C58 8D638938
	v_mfma_scale_f32_16x16x128_f8f6f4 v[120:123], a[56:59], v[204:207], v[120:123], v28, v23 op_sel_hi:[0,0,0] cbsz:4 blgp:4// 0000000037E0: D3AC7000 18022F1C D3AD0C78 8DE39938
	buffer_load_dwordx4 a[120:123], v58, s[92:95], 0 offen offset:1024// 0000000037F0: E05C1400 8097783A
	v_mfma_scale_f32_16x16x128_f8f6f4 v[92:95], a[60:63], v[196:199], v[92:95], v28, v23 op_sel_hi:[0,0,0] cbsz:4 blgp:4// 0000000037F8: D3AC6800 18022F1C D3AD0C5C 8D73893C
	v_mfma_scale_f32_16x16x128_f8f6f4 v[124:127], a[60:63], v[204:207], v[124:127], v28, v23 op_sel_hi:[0,0,0] cbsz:4 blgp:4// 000000003808: D3AC7800 18022F1C D3AD0C7C 8DF3993C
	buffer_load_dwordx4 a[124:127], v59, s[92:95], 0 offen offset:1024// 000000003818: E05C1400 80977C3B
	s_add_u32 s60, 0x100, s80                                  // 000000003820: 803C50FF 00000100
	s_cmp_lt_u32 s60, s81                                      // 000000003828: BF0A513C
	s_cselect_b32 s4, s4, 0                                    // 00000000382C: 85048004
	s_add_u32 s32, s4, s32                                     // 000000003830: 80202004
	s_addc_u32 s33, 0, s33                                     // 000000003834: 82212180
	s_waitcnt vmcnt(14)                                        // 000000003838: BF8C0F7E
	s_barrier                                                  // 00000000383C: BF8A0000
	v_mfma_scale_f32_16x16x128_f8f6f4 v[128:131], a[64:67], v[192:195], v[128:131], v33, v23 op_sel_hi:[0,0,0] cbsz:4 blgp:4// 000000003840: D3AC6000 00022F21 D3AD0C80 8E038140
	v_mfma_scale_f32_16x16x128_f8f6f4 v[160:163], a[64:67], v[200:203], v[160:163], v33, v23 op_sel_hi:[0,0,0] cbsz:4 blgp:4// 000000003850: D3AC7000 00022F21 D3AD0CA0 8E839140
	buffer_load_dwordx4 a[0:3], v52, s[24:27], 0 offen         // 000000003860: E05C1000 80860034
	buffer_load_dword v29, v15, s[32:35], 0 offen              // 000000003868: E0501000 80081D0F
	buffer_load_dword v30, v16, s[32:35], 0 offen              // 000000003870: E0501000 80081E10
	v_mfma_scale_f32_16x16x128_f8f6f4 v[132:135], a[68:71], v[192:195], v[132:135], v33, v23 op_sel_hi:[0,0,0] cbsz:4 blgp:4// 000000003878: D3AC6800 00022F21 D3AD0C84 8E138144
	v_mfma_scale_f32_16x16x128_f8f6f4 v[164:167], a[68:71], v[200:203], v[164:167], v33, v23 op_sel_hi:[0,0,0] cbsz:4 blgp:4// 000000003888: D3AC7800 00022F21 D3AD0CA4 8E939144
	buffer_load_dwordx4 a[4:7], v53, s[24:27], 0 offen         // 000000003898: E05C1000 80860435
	buffer_load_dword v31, v17, s[32:35], 0 offen              // 0000000038A0: E0501000 80081F11
	buffer_load_dword v32, v18, s[32:35], 0 offen              // 0000000038A8: E0501000 80082012
	s_waitcnt vmcnt(18)                                        // 0000000038B0: BF8C4F72
	v_mfma_scale_f32_16x16x128_f8f6f4 v[136:139], a[72:75], v[192:195], v[136:139], v34, v23 op_sel_hi:[0,0,0] cbsz:4 blgp:4// 0000000038B4: D3AC6000 00022F22 D3AD0C88 8E238148
	v_mfma_scale_f32_16x16x128_f8f6f4 v[168:171], a[72:75], v[200:203], v[168:171], v34, v23 op_sel_hi:[0,0,0] cbsz:4 blgp:4// 0000000038C4: D3AC7000 00022F22 D3AD0CA8 8EA39148
	buffer_load_dwordx4 a[8:11], v54, s[24:27], 0 offen        // 0000000038D4: E05C1000 80860836
	v_mfma_scale_f32_16x16x128_f8f6f4 v[140:143], a[76:79], v[192:195], v[140:143], v34, v23 op_sel_hi:[0,0,0] cbsz:4 blgp:4// 0000000038DC: D3AC6800 00022F22 D3AD0C8C 8E33814C
	v_mfma_scale_f32_16x16x128_f8f6f4 v[172:175], a[76:79], v[200:203], v[172:175], v34, v23 op_sel_hi:[0,0,0] cbsz:4 blgp:4// 0000000038EC: D3AC7800 00022F22 D3AD0CAC 8EB3914C
	buffer_load_dwordx4 a[12:15], v55, s[24:27], 0 offen       // 0000000038FC: E05C1000 80860C37
	s_waitcnt vmcnt(18)                                        // 000000003904: BF8C4F72
	v_mfma_scale_f32_16x16x128_f8f6f4 v[144:147], a[80:83], v[192:195], v[144:147], v35, v23 op_sel_hi:[0,0,0] cbsz:4 blgp:4// 000000003908: D3AC6000 00022F23 D3AD0C90 8E438150
	v_mfma_scale_f32_16x16x128_f8f6f4 v[176:179], a[80:83], v[200:203], v[176:179], v35, v23 op_sel_hi:[0,0,0] cbsz:4 blgp:4// 000000003918: D3AC7000 00022F23 D3AD0CB0 8EC39150
	buffer_load_dwordx4 a[16:19], v56, s[24:27], 0 offen       // 000000003928: E05C1000 80861038
	v_mfma_scale_f32_16x16x128_f8f6f4 v[148:151], a[84:87], v[192:195], v[148:151], v35, v23 op_sel_hi:[0,0,0] cbsz:4 blgp:4// 000000003930: D3AC6800 00022F23 D3AD0C94 8E538154
	v_mfma_scale_f32_16x16x128_f8f6f4 v[180:183], a[84:87], v[200:203], v[180:183], v35, v23 op_sel_hi:[0,0,0] cbsz:4 blgp:4// 000000003940: D3AC7800 00022F23 D3AD0CB4 8ED39154
	buffer_load_dwordx4 a[20:23], v57, s[24:27], 0 offen       // 000000003950: E05C1000 80861439
	s_waitcnt vmcnt(18)                                        // 000000003958: BF8C4F72
	v_mfma_scale_f32_16x16x128_f8f6f4 v[152:155], a[88:91], v[192:195], v[152:155], v36, v23 op_sel_hi:[0,0,0] cbsz:4 blgp:4// 00000000395C: D3AC6000 00022F24 D3AD0C98 8E638158
	v_mfma_scale_f32_16x16x128_f8f6f4 v[184:187], a[88:91], v[200:203], v[184:187], v36, v23 op_sel_hi:[0,0,0] cbsz:4 blgp:4// 00000000396C: D3AC7000 00022F24 D3AD0CB8 8EE39158
	buffer_load_dwordx4 a[24:27], v58, s[24:27], 0 offen       // 00000000397C: E05C1000 8086183A
	v_mfma_scale_f32_16x16x128_f8f6f4 v[156:159], a[92:95], v[192:195], v[156:159], v36, v23 op_sel_hi:[0,0,0] cbsz:4 blgp:4// 000000003984: D3AC6800 00022F24 D3AD0C9C 8E73815C
	v_mfma_scale_f32_16x16x128_f8f6f4 v[188:191], a[92:95], v[200:203], v[188:191], v36, v23 op_sel_hi:[0,0,0] cbsz:4 blgp:4// 000000003994: D3AC7800 00022F24 D3AD0CBC 8EF3915C
	buffer_load_dwordx4 a[28:31], v59, s[24:27], 0 offen       // 0000000039A4: E05C1000 80861C3B
	s_waitcnt vmcnt(18)                                        // 0000000039AC: BF8C4F72
	v_mfma_scale_f32_16x16x128_f8f6f4 v[128:131], a[96:99], v[196:199], v[128:131], v33, v23 op_sel_hi:[0,0,0] cbsz:4 blgp:4// 0000000039B0: D3AC6000 18022F21 D3AD0C80 8E038960
	ds_read_b128 v[208:211], v6 offset:4224                    // 0000000039C0: D9FE1080 D0000006
	ds_read_b128 v[212:215], v6 offset:4288                    // 0000000039C8: D9FE10C0 D4000006
	v_mfma_scale_f32_16x16x128_f8f6f4 v[160:163], a[96:99], v[204:207], v[160:163], v33, v23 op_sel_hi:[0,0,0] cbsz:4 blgp:4// 0000000039D0: D3AC7000 18022F21 D3AD0CA0 8E839960
	buffer_load_dwordx4 a[32:35], v52, s[24:27], 0 offen offset:1024// 0000000039E0: E05C1400 80862034
	v_mfma_scale_f32_16x16x128_f8f6f4 v[132:135], a[100:103], v[196:199], v[132:135], v33, v23 op_sel_hi:[0,0,0] cbsz:4 blgp:4// 0000000039E8: D3AC6800 18022F21 D3AD0C84 8E138964
	ds_read_b128 v[216:219], v6 offset:4736                    // 0000000039F8: D9FE1280 D8000006
	ds_read_b128 v[220:223], v6 offset:4800                    // 000000003A00: D9FE12C0 DC000006
	v_mfma_scale_f32_16x16x128_f8f6f4 v[164:167], a[100:103], v[204:207], v[164:167], v33, v23 op_sel_hi:[0,0,0] cbsz:4 blgp:4// 000000003A08: D3AC7800 18022F21 D3AD0CA4 8E939964
	buffer_load_dwordx4 a[36:39], v53, s[24:27], 0 offen offset:1024// 000000003A18: E05C1400 80862435
	s_waitcnt vmcnt(18)                                        // 000000003A20: BF8C4F72
	v_mfma_scale_f32_16x16x128_f8f6f4 v[136:139], a[104:107], v[196:199], v[136:139], v34, v23 op_sel_hi:[0,0,0] cbsz:4 blgp:4// 000000003A24: D3AC6000 18022F22 D3AD0C88 8E238968
	v_mfma_scale_f32_16x16x128_f8f6f4 v[168:171], a[104:107], v[204:207], v[168:171], v34, v23 op_sel_hi:[0,0,0] cbsz:4 blgp:4// 000000003A34: D3AC7000 18022F22 D3AD0CA8 8EA39968
	buffer_load_dwordx4 a[40:43], v54, s[24:27], 0 offen offset:1024// 000000003A44: E05C1400 80862836
	v_mfma_scale_f32_16x16x128_f8f6f4 v[140:143], a[108:111], v[196:199], v[140:143], v34, v23 op_sel_hi:[0,0,0] cbsz:4 blgp:4// 000000003A4C: D3AC6800 18022F22 D3AD0C8C 8E33896C
	v_mfma_scale_f32_16x16x128_f8f6f4 v[172:175], a[108:111], v[204:207], v[172:175], v34, v23 op_sel_hi:[0,0,0] cbsz:4 blgp:4// 000000003A5C: D3AC7800 18022F22 D3AD0CAC 8EB3996C
	buffer_load_dwordx4 a[44:47], v55, s[24:27], 0 offen offset:1024// 000000003A6C: E05C1400 80862C37
	s_waitcnt vmcnt(18)                                        // 000000003A74: BF8C4F72
	v_mfma_scale_f32_16x16x128_f8f6f4 v[144:147], a[112:115], v[196:199], v[144:147], v35, v23 op_sel_hi:[0,0,0] cbsz:4 blgp:4// 000000003A78: D3AC6000 18022F23 D3AD0C90 8E438970
	v_mfma_scale_f32_16x16x128_f8f6f4 v[176:179], a[112:115], v[204:207], v[176:179], v35, v23 op_sel_hi:[0,0,0] cbsz:4 blgp:4// 000000003A88: D3AC7000 18022F23 D3AD0CB0 8EC39970
	buffer_load_dwordx4 a[48:51], v56, s[24:27], 0 offen offset:1024// 000000003A98: E05C1400 80863038
	v_mfma_scale_f32_16x16x128_f8f6f4 v[148:151], a[116:119], v[196:199], v[148:151], v35, v23 op_sel_hi:[0,0,0] cbsz:4 blgp:4// 000000003AA0: D3AC6800 18022F23 D3AD0C94 8E538974
	v_mfma_scale_f32_16x16x128_f8f6f4 v[180:183], a[116:119], v[204:207], v[180:183], v35, v23 op_sel_hi:[0,0,0] cbsz:4 blgp:4// 000000003AB0: D3AC7800 18022F23 D3AD0CB4 8ED39974
	buffer_load_dwordx4 a[52:55], v57, s[24:27], 0 offen offset:1024// 000000003AC0: E05C1400 80863439
	s_waitcnt vmcnt(18)                                        // 000000003AC8: BF8C4F72
	v_mfma_scale_f32_16x16x128_f8f6f4 v[152:155], a[120:123], v[196:199], v[152:155], v36, v23 op_sel_hi:[0,0,0] cbsz:4 blgp:4// 000000003ACC: D3AC6000 18022F24 D3AD0C98 8E638978
	v_mfma_scale_f32_16x16x128_f8f6f4 v[184:187], a[120:123], v[204:207], v[184:187], v36, v23 op_sel_hi:[0,0,0] cbsz:4 blgp:4// 000000003ADC: D3AC7000 18022F24 D3AD0CB8 8EE39978
	buffer_load_dwordx4 a[56:59], v58, s[24:27], 0 offen offset:1024// 000000003AEC: E05C1400 8086383A
	v_mfma_scale_f32_16x16x128_f8f6f4 v[156:159], a[124:127], v[196:199], v[156:159], v36, v23 op_sel_hi:[0,0,0] cbsz:4 blgp:4// 000000003AF4: D3AC6800 18022F24 D3AD0C9C 8E73897C
	v_mfma_scale_f32_16x16x128_f8f6f4 v[188:191], a[124:127], v[204:207], v[188:191], v36, v23 op_sel_hi:[0,0,0] cbsz:4 blgp:4// 000000003B04: D3AC7800 18022F24 D3AD0CBC 8EF3997C
	buffer_load_dwordx4 a[60:63], v59, s[24:27], 0 offen offset:1024// 000000003B14: E05C1400 80863C3B
	s_add_u32 s60, 0x200, s80                                  // 000000003B1C: 803C50FF 00000200
	s_cmp_lt_u32 s60, s81                                      // 000000003B24: BF0A513C
	s_cselect_b32 s57, s57, 0                                  // 000000003B28: 85398039
	s_cselect_b32 s3, s3, 0                                    // 000000003B2C: 85038003
	s_add_u32 s60, 0x200, s80                                  // 000000003B30: 803C50FF 00000200
	s_cmp_lt_u32 s60, s81                                      // 000000003B38: BF0A513C
	s_cselect_b32 s58, s58, 0                                  // 000000003B3C: 853A803A
	s_add_u32 s20, s57, s20                                    // 000000003B40: 80141439
	s_addc_u32 s21, 0, s21                                     // 000000003B44: 82151580
	s_add_u32 s28, s3, s28                                     // 000000003B48: 801C1C03
	s_addc_u32 s29, 0, s29                                     // 000000003B4C: 821D1D80
	s_add_u32 s24, s58, s24                                    // 000000003B50: 8018183A
	s_addc_u32 s25, 0, s25                                     // 000000003B54: 82191980
	s_add_u32 s92, s90, s92                                    // 000000003B58: 805C5C5A
	s_addc_u32 s93, 0, s93                                     // 000000003B5C: 825D5D80
	s_addk_i32 s80, 0x100                                      // 000000003B60: B7500100
	s_cmp_lt_i32 s80, s81                                      // 000000003B64: BF045150
	s_cbranch_scc0 label_05A6                                  // 000000003B68: BF84018B
	s_waitcnt vmcnt(14) lgkmcnt(0)                             // 000000003B6C: BF8C007E
	s_barrier                                                  // 000000003B70: BF8A0000
	v_mfma_scale_f32_16x16x128_f8f6f4 v[64:67], a[0:3], v[208:211], v[64:67], v29, v24 op_sel_hi:[0,0,0] cbsz:4 blgp:4// 000000003B74: D3AC6000 0002311D D3AD0C40 8D03A100
	v_mfma_scale_f32_16x16x128_f8f6f4 v[96:99], a[0:3], v[216:219], v[96:99], v29, v24 op_sel_hi:[0,0,0] cbsz:4 blgp:4// 000000003B84: D3AC7000 0002311D D3AD0C60 8D83B100
	buffer_load_dwordx4 a[64:67], v52, s[92:95], 0 offen       // 000000003B94: E05C1000 80974034
	buffer_load_dwordx4 v51, s[20:23], 0 offen lds             // 000000003B9C: E05D1000 80050033
	s_add_u32 m0, 0, s51                                       // 000000003BA4: 807C3380
	v_mfma_scale_f32_16x16x128_f8f6f4 v[68:71], a[4:7], v[208:211], v[68:71], v29, v24 op_sel_hi:[0,0,0] cbsz:4 blgp:4// 000000003BA8: D3AC6800 0002311D D3AD0C44 8D13A104
	v_mfma_scale_f32_16x16x128_f8f6f4 v[100:103], a[4:7], v[216:219], v[100:103], v29, v24 op_sel_hi:[0,0,0] cbsz:4 blgp:4// 000000003BB8: D3AC7800 0002311D D3AD0C64 8D93B104
	buffer_load_dwordx4 a[68:71], v53, s[92:95], 0 offen       // 000000003BC8: E05C1000 80974435
	buffer_load_dword v23, v12, s[28:31], 0 offen              // 000000003BD0: E0501000 8007170C
	buffer_load_dword v37, v19, s[32:35], 0 offen              // 000000003BD8: E0501000 80082513
	buffer_load_dword v38, v20, s[32:35], 0 offen              // 000000003BE0: E0501000 80082614
	buffer_load_dword v39, v21, s[32:35], 0 offen              // 000000003BE8: E0501000 80082715
	buffer_load_dword v40, v22, s[32:35], 0 offen              // 000000003BF0: E0501000 80082816
	s_waitcnt vmcnt(20)                                        // 000000003BF8: BF8C4F74
	v_mfma_scale_f32_16x16x128_f8f6f4 v[72:75], a[8:11], v[208:211], v[72:75], v30, v24 op_sel_hi:[0,0,0] cbsz:4 blgp:4// 000000003BFC: D3AC6000 0002311E D3AD0C48 8D23A108
	v_mfma_scale_f32_16x16x128_f8f6f4 v[104:107], a[8:11], v[216:219], v[104:107], v30, v24 op_sel_hi:[0,0,0] cbsz:4 blgp:4// 000000003C0C: D3AC7000 0002311E D3AD0C68 8DA3B108
	buffer_load_dwordx4 a[72:75], v54, s[92:95], 0 offen       // 000000003C1C: E05C1000 80974836
	v_mfma_scale_f32_16x16x128_f8f6f4 v[76:79], a[12:15], v[208:211], v[76:79], v30, v24 op_sel_hi:[0,0,0] cbsz:4 blgp:4// 000000003C24: D3AC6800 0002311E D3AD0C4C 8D33A10C
	v_mfma_scale_f32_16x16x128_f8f6f4 v[108:111], a[12:15], v[216:219], v[108:111], v30, v24 op_sel_hi:[0,0,0] cbsz:4 blgp:4// 000000003C34: D3AC7800 0002311E D3AD0C6C 8DB3B10C
	buffer_load_dwordx4 a[76:79], v55, s[92:95], 0 offen       // 000000003C44: E05C1000 80974C37
	s_waitcnt vmcnt(20)                                        // 000000003C4C: BF8C4F74
	v_mfma_scale_f32_16x16x128_f8f6f4 v[80:83], a[16:19], v[208:211], v[80:83], v31, v24 op_sel_hi:[0,0,0] cbsz:4 blgp:4// 000000003C50: D3AC6000 0002311F D3AD0C50 8D43A110
	v_mfma_scale_f32_16x16x128_f8f6f4 v[112:115], a[16:19], v[216:219], v[112:115], v31, v24 op_sel_hi:[0,0,0] cbsz:4 blgp:4// 000000003C60: D3AC7000 0002311F D3AD0C70 8DC3B110
	buffer_load_dwordx4 a[80:83], v56, s[92:95], 0 offen       // 000000003C70: E05C1000 80975038
	v_mfma_scale_f32_16x16x128_f8f6f4 v[84:87], a[20:23], v[208:211], v[84:87], v31, v24 op_sel_hi:[0,0,0] cbsz:4 blgp:4// 000000003C78: D3AC6800 0002311F D3AD0C54 8D53A114
	v_mfma_scale_f32_16x16x128_f8f6f4 v[116:119], a[20:23], v[216:219], v[116:119], v31, v24 op_sel_hi:[0,0,0] cbsz:4 blgp:4// 000000003C88: D3AC7800 0002311F D3AD0C74 8DD3B114
	buffer_load_dwordx4 a[84:87], v57, s[92:95], 0 offen       // 000000003C98: E05C1000 80975439
	s_waitcnt vmcnt(20)                                        // 000000003CA0: BF8C4F74
	v_mfma_scale_f32_16x16x128_f8f6f4 v[88:91], a[24:27], v[208:211], v[88:91], v32, v24 op_sel_hi:[0,0,0] cbsz:4 blgp:4// 000000003CA4: D3AC6000 00023120 D3AD0C58 8D63A118
	v_mfma_scale_f32_16x16x128_f8f6f4 v[120:123], a[24:27], v[216:219], v[120:123], v32, v24 op_sel_hi:[0,0,0] cbsz:4 blgp:4// 000000003CB4: D3AC7000 00023120 D3AD0C78 8DE3B118
	buffer_load_dwordx4 a[88:91], v58, s[92:95], 0 offen       // 000000003CC4: E05C1000 8097583A
	v_mfma_scale_f32_16x16x128_f8f6f4 v[92:95], a[28:31], v[208:211], v[92:95], v32, v24 op_sel_hi:[0,0,0] cbsz:4 blgp:4// 000000003CCC: D3AC6800 00023120 D3AD0C5C 8D73A11C
	v_mfma_scale_f32_16x16x128_f8f6f4 v[124:127], a[28:31], v[216:219], v[124:127], v32, v24 op_sel_hi:[0,0,0] cbsz:4 blgp:4// 000000003CDC: D3AC7800 00023120 D3AD0C7C 8DF3B11C
	buffer_load_dwordx4 a[92:95], v59, s[92:95], 0 offen       // 000000003CEC: E05C1000 80975C3B
	s_nop 0                                                    // 000000003CF4: BF800000
	s_waitcnt vmcnt(20)                                        // 000000003CF8: BF8C4F74
	v_mfma_scale_f32_16x16x128_f8f6f4 v[64:67], a[32:35], v[212:215], v[64:67], v29, v24 op_sel_hi:[0,0,0] cbsz:4 blgp:4// 000000003CFC: D3AC6000 1802311D D3AD0C40 8D03A920
	v_mfma_scale_f32_16x16x128_f8f6f4 v[96:99], a[32:35], v[220:223], v[96:99], v29, v24 op_sel_hi:[0,0,0] cbsz:4 blgp:4// 000000003D0C: D3AC3000 1802311D D3AD0C60 8D83B920
	buffer_load_dwordx4 a[96:99], v52, s[92:95], 0 offen offset:1024// 000000003D1C: E05C1400 80976034
	v_mfma_scale_f32_16x16x128_f8f6f4 v[68:71], a[36:39], v[212:215], v[68:71], v29, v24 op_sel_hi:[0,0,0] cbsz:4 blgp:4// 000000003D24: D3AC6800 1802311D D3AD0C44 8D13A924
	v_mfma_scale_f32_16x16x128_f8f6f4 v[100:103], a[36:39], v[220:223], v[100:103], v29, v24 op_sel_hi:[0,0,0] cbsz:4 blgp:4// 000000003D34: D3AC7800 1802311D D3AD0C64 8D93B924
	buffer_load_dwordx4 a[100:103], v53, s[92:95], 0 offen offset:1024// 000000003D44: E05C1400 80976435
	s_waitcnt vmcnt(20)                                        // 000000003D4C: BF8C4F74
	v_mfma_scale_f32_16x16x128_f8f6f4 v[72:75], a[40:43], v[212:215], v[72:75], v30, v24 op_sel_hi:[0,0,0] cbsz:4 blgp:4// 000000003D50: D3AC6000 1802311E D3AD0C48 8D23A928
	v_mfma_scale_f32_16x16x128_f8f6f4 v[104:107], a[40:43], v[220:223], v[104:107], v30, v24 op_sel_hi:[0,0,0] cbsz:4 blgp:4// 000000003D60: D3AC7000 1802311E D3AD0C68 8DA3B928
	buffer_load_dwordx4 a[104:107], v54, s[92:95], 0 offen offset:1024// 000000003D70: E05C1400 80976836
	v_mfma_scale_f32_16x16x128_f8f6f4 v[76:79], a[44:47], v[212:215], v[76:79], v30, v24 op_sel_hi:[0,0,0] cbsz:4 blgp:4// 000000003D78: D3AC6800 1802311E D3AD0C4C 8D33A92C
	v_mfma_scale_f32_16x16x128_f8f6f4 v[108:111], a[44:47], v[220:223], v[108:111], v30, v24 op_sel_hi:[0,0,0] cbsz:4 blgp:4// 000000003D88: D3AC7800 1802311E D3AD0C6C 8DB3B92C
	buffer_load_dwordx4 a[108:111], v55, s[92:95], 0 offen offset:1024// 000000003D98: E05C1400 80976C37
	s_waitcnt vmcnt(20)                                        // 000000003DA0: BF8C4F74
	v_mfma_scale_f32_16x16x128_f8f6f4 v[80:83], a[48:51], v[212:215], v[80:83], v31, v24 op_sel_hi:[0,0,0] cbsz:4 blgp:4// 000000003DA4: D3AC6000 1802311F D3AD0C50 8D43A930
	v_mfma_scale_f32_16x16x128_f8f6f4 v[112:115], a[48:51], v[220:223], v[112:115], v31, v24 op_sel_hi:[0,0,0] cbsz:4 blgp:4// 000000003DB4: D3AC7000 1802311F D3AD0C70 8DC3B930
	buffer_load_dwordx4 a[112:115], v56, s[92:95], 0 offen offset:1024// 000000003DC4: E05C1400 80977038
	v_mfma_scale_f32_16x16x128_f8f6f4 v[84:87], a[52:55], v[212:215], v[84:87], v31, v24 op_sel_hi:[0,0,0] cbsz:4 blgp:4// 000000003DCC: D3AC6800 1802311F D3AD0C54 8D53A934
	v_mfma_scale_f32_16x16x128_f8f6f4 v[116:119], a[52:55], v[220:223], v[116:119], v31, v24 op_sel_hi:[0,0,0] cbsz:4 blgp:4// 000000003DDC: D3AC7800 1802311F D3AD0C74 8DD3B934
	buffer_load_dwordx4 a[116:119], v57, s[92:95], 0 offen offset:1024// 000000003DEC: E05C1400 80977439
	s_waitcnt vmcnt(20)                                        // 000000003DF4: BF8C4F74
	v_mfma_scale_f32_16x16x128_f8f6f4 v[88:91], a[56:59], v[212:215], v[88:91], v32, v24 op_sel_hi:[0,0,0] cbsz:4 blgp:4// 000000003DF8: D3AC6000 18023120 D3AD0C58 8D63A938
	v_mfma_scale_f32_16x16x128_f8f6f4 v[120:123], a[56:59], v[220:223], v[120:123], v32, v24 op_sel_hi:[0,0,0] cbsz:4 blgp:4// 000000003E08: D3AC7000 18023120 D3AD0C78 8DE3B938
	buffer_load_dwordx4 a[120:123], v58, s[92:95], 0 offen offset:1024// 000000003E18: E05C1400 8097783A
	v_mfma_scale_f32_16x16x128_f8f6f4 v[92:95], a[60:63], v[212:215], v[92:95], v32, v24 op_sel_hi:[0,0,0] cbsz:4 blgp:4// 000000003E20: D3AC6800 18023120 D3AD0C5C 8D73A93C
	v_mfma_scale_f32_16x16x128_f8f6f4 v[124:127], a[60:63], v[220:223], v[124:127], v32, v24 op_sel_hi:[0,0,0] cbsz:4 blgp:4// 000000003E30: D3AC5800 18023120 D3AD0C7C 8DF3B93C
	buffer_load_dwordx4 a[124:127], v59, s[92:95], 0 offen offset:1024// 000000003E40: E05C1400 80977C3B
	s_add_u32 s60, 0x100, s80                                  // 000000003E48: 803C50FF 00000100
	s_cmp_lt_u32 s60, s81                                      // 000000003E50: BF0A513C
	s_cselect_b32 s4, s4, 0                                    // 000000003E54: 85048004
	s_add_u32 s32, s4, s32                                     // 000000003E58: 80202004
	s_addc_u32 s33, 0, s33                                     // 000000003E5C: 82212180
	s_waitcnt vmcnt(14)                                        // 000000003E60: BF8C0F7E
	s_barrier                                                  // 000000003E64: BF8A0000
	v_mfma_scale_f32_16x16x128_f8f6f4 v[128:131], a[64:67], v[208:211], v[128:131], v37, v24 op_sel_hi:[0,0,0] cbsz:4 blgp:4// 000000003E68: D3AC6000 00023125 D3AD0C80 8E03A140
	v_mfma_scale_f32_16x16x128_f8f6f4 v[160:163], a[64:67], v[216:219], v[160:163], v37, v24 op_sel_hi:[0,0,0] cbsz:4 blgp:4// 000000003E78: D3AC7000 00023125 D3AD0CA0 8E83B140
	buffer_load_dwordx4 a[0:3], v52, s[24:27], 0 offen         // 000000003E88: E05C1000 80860034
	buffer_load_dword v25, v15, s[32:35], 0 offen              // 000000003E90: E0501000 8008190F
	buffer_load_dword v26, v16, s[32:35], 0 offen              // 000000003E98: E0501000 80081A10
	v_mfma_scale_f32_16x16x128_f8f6f4 v[132:135], a[68:71], v[208:211], v[132:135], v37, v24 op_sel_hi:[0,0,0] cbsz:4 blgp:4// 000000003EA0: D3AC6800 00023125 D3AD0C84 8E13A144
	v_mfma_scale_f32_16x16x128_f8f6f4 v[164:167], a[68:71], v[216:219], v[164:167], v37, v24 op_sel_hi:[0,0,0] cbsz:4 blgp:4// 000000003EB0: D3AC7800 00023125 D3AD0CA4 8E93B144
	buffer_load_dwordx4 a[4:7], v53, s[24:27], 0 offen         // 000000003EC0: E05C1000 80860435
	buffer_load_dword v27, v17, s[32:35], 0 offen              // 000000003EC8: E0501000 80081B11
	buffer_load_dword v28, v18, s[32:35], 0 offen              // 000000003ED0: E0501000 80081C12
	s_waitcnt vmcnt(18)                                        // 000000003ED8: BF8C4F72
	v_mfma_scale_f32_16x16x128_f8f6f4 v[136:139], a[72:75], v[208:211], v[136:139], v38, v24 op_sel_hi:[0,0,0] cbsz:4 blgp:4// 000000003EDC: D3AC6000 00023126 D3AD0C88 8E23A148
	v_mfma_scale_f32_16x16x128_f8f6f4 v[168:171], a[72:75], v[216:219], v[168:171], v38, v24 op_sel_hi:[0,0,0] cbsz:4 blgp:4// 000000003EEC: D3AC7000 00023126 D3AD0CA8 8EA3B148
	buffer_load_dwordx4 a[8:11], v54, s[24:27], 0 offen        // 000000003EFC: E05C1000 80860836
	v_mfma_scale_f32_16x16x128_f8f6f4 v[140:143], a[76:79], v[208:211], v[140:143], v38, v24 op_sel_hi:[0,0,0] cbsz:4 blgp:4// 000000003F04: D3AC6800 00023126 D3AD0C8C 8E33A14C
	v_mfma_scale_f32_16x16x128_f8f6f4 v[172:175], a[76:79], v[216:219], v[172:175], v38, v24 op_sel_hi:[0,0,0] cbsz:4 blgp:4// 000000003F14: D3AC7800 00023126 D3AD0CAC 8EB3B14C
	buffer_load_dwordx4 a[12:15], v55, s[24:27], 0 offen       // 000000003F24: E05C1000 80860C37
	s_waitcnt vmcnt(18)                                        // 000000003F2C: BF8C4F72
	v_mfma_scale_f32_16x16x128_f8f6f4 v[144:147], a[80:83], v[208:211], v[144:147], v39, v24 op_sel_hi:[0,0,0] cbsz:4 blgp:4// 000000003F30: D3AC6000 00023127 D3AD0C90 8E43A150
	v_mfma_scale_f32_16x16x128_f8f6f4 v[176:179], a[80:83], v[216:219], v[176:179], v39, v24 op_sel_hi:[0,0,0] cbsz:4 blgp:4// 000000003F40: D3AC7000 00023127 D3AD0CB0 8EC3B150
	buffer_load_dwordx4 a[16:19], v56, s[24:27], 0 offen       // 000000003F50: E05C1000 80861038
	v_mfma_scale_f32_16x16x128_f8f6f4 v[148:151], a[84:87], v[208:211], v[148:151], v39, v24 op_sel_hi:[0,0,0] cbsz:4 blgp:4// 000000003F58: D3AC6800 00023127 D3AD0C94 8E53A154
	v_mfma_scale_f32_16x16x128_f8f6f4 v[180:183], a[84:87], v[216:219], v[180:183], v39, v24 op_sel_hi:[0,0,0] cbsz:4 blgp:4// 000000003F68: D3AC7800 00023127 D3AD0CB4 8ED3B154
	buffer_load_dwordx4 a[20:23], v57, s[24:27], 0 offen       // 000000003F78: E05C1000 80861439
	s_waitcnt vmcnt(18)                                        // 000000003F80: BF8C4F72
	v_mfma_scale_f32_16x16x128_f8f6f4 v[152:155], a[88:91], v[208:211], v[152:155], v40, v24 op_sel_hi:[0,0,0] cbsz:4 blgp:4// 000000003F84: D3AC6000 00023128 D3AD0C98 8E63A158
	v_mfma_scale_f32_16x16x128_f8f6f4 v[184:187], a[88:91], v[216:219], v[184:187], v40, v24 op_sel_hi:[0,0,0] cbsz:4 blgp:4// 000000003F94: D3AC7000 00023128 D3AD0CB8 8EE3B158
	buffer_load_dwordx4 a[24:27], v58, s[24:27], 0 offen       // 000000003FA4: E05C1000 8086183A
	v_mfma_scale_f32_16x16x128_f8f6f4 v[156:159], a[92:95], v[208:211], v[156:159], v40, v24 op_sel_hi:[0,0,0] cbsz:4 blgp:4// 000000003FAC: D3AC6800 00023128 D3AD0C9C 8E73A15C
	v_mfma_scale_f32_16x16x128_f8f6f4 v[188:191], a[92:95], v[216:219], v[188:191], v40, v24 op_sel_hi:[0,0,0] cbsz:4 blgp:4// 000000003FBC: D3AC7800 00023128 D3AD0CBC 8EF3B15C
	buffer_load_dwordx4 a[28:31], v59, s[24:27], 0 offen       // 000000003FCC: E05C1000 80861C3B
	s_waitcnt vmcnt(18)                                        // 000000003FD4: BF8C4F72
	v_mfma_scale_f32_16x16x128_f8f6f4 v[128:131], a[96:99], v[212:215], v[128:131], v37, v24 op_sel_hi:[0,0,0] cbsz:4 blgp:4// 000000003FD8: D3AC6000 18023125 D3AD0C80 8E03A960
	ds_read_b128 v[192:195], v6                                // 000000003FE8: D9FE0000 C0000006
	ds_read_b128 v[196:199], v6 offset:64                      // 000000003FF0: D9FE0040 C4000006
	v_mfma_scale_f32_16x16x128_f8f6f4 v[160:163], a[96:99], v[220:223], v[160:163], v37, v24 op_sel_hi:[0,0,0] cbsz:4 blgp:4// 000000003FF8: D3AC7000 18023125 D3AD0CA0 8E83B960
	buffer_load_dwordx4 a[32:35], v52, s[24:27], 0 offen offset:1024// 000000004008: E05C1400 80862034
	v_mfma_scale_f32_16x16x128_f8f6f4 v[132:135], a[100:103], v[212:215], v[132:135], v37, v24 op_sel_hi:[0,0,0] cbsz:4 blgp:4// 000000004010: D3AC6800 18023125 D3AD0C84 8E13A964
	ds_read_b128 v[200:203], v6 offset:512                     // 000000004020: D9FE0200 C8000006
	ds_read_b128 v[204:207], v6 offset:576                     // 000000004028: D9FE0240 CC000006
	v_mfma_scale_f32_16x16x128_f8f6f4 v[164:167], a[100:103], v[220:223], v[164:167], v37, v24 op_sel_hi:[0,0,0] cbsz:4 blgp:4// 000000004030: D3AC7800 18023125 D3AD0CA4 8E93B964
	buffer_load_dwordx4 a[36:39], v53, s[24:27], 0 offen offset:1024// 000000004040: E05C1400 80862435
	s_waitcnt vmcnt(18)                                        // 000000004048: BF8C4F72
	v_mfma_scale_f32_16x16x128_f8f6f4 v[136:139], a[104:107], v[212:215], v[136:139], v38, v24 op_sel_hi:[0,0,0] cbsz:4 blgp:4// 00000000404C: D3AC6000 18023126 D3AD0C88 8E23A968
	v_mfma_scale_f32_16x16x128_f8f6f4 v[168:171], a[104:107], v[220:223], v[168:171], v38, v24 op_sel_hi:[0,0,0] cbsz:4 blgp:4// 00000000405C: D3AC7000 18023126 D3AD0CA8 8EA3B968
	buffer_load_dwordx4 a[40:43], v54, s[24:27], 0 offen offset:1024// 00000000406C: E05C1400 80862836
	v_mfma_scale_f32_16x16x128_f8f6f4 v[140:143], a[108:111], v[212:215], v[140:143], v38, v24 op_sel_hi:[0,0,0] cbsz:4 blgp:4// 000000004074: D3AC6800 18023126 D3AD0C8C 8E33A96C
	v_mfma_scale_f32_16x16x128_f8f6f4 v[172:175], a[108:111], v[220:223], v[172:175], v38, v24 op_sel_hi:[0,0,0] cbsz:4 blgp:4// 000000004084: D3AC7800 18023126 D3AD0CAC 8EB3B96C
	buffer_load_dwordx4 a[44:47], v55, s[24:27], 0 offen offset:1024// 000000004094: E05C1400 80862C37
	s_waitcnt vmcnt(18)                                        // 00000000409C: BF8C4F72
	v_mfma_scale_f32_16x16x128_f8f6f4 v[144:147], a[112:115], v[212:215], v[144:147], v39, v24 op_sel_hi:[0,0,0] cbsz:4 blgp:4// 0000000040A0: D3AC6000 18023127 D3AD0C90 8E43A970
	v_mfma_scale_f32_16x16x128_f8f6f4 v[176:179], a[112:115], v[220:223], v[176:179], v39, v24 op_sel_hi:[0,0,0] cbsz:4 blgp:4// 0000000040B0: D3AC7000 18023127 D3AD0CB0 8EC3B970
	buffer_load_dwordx4 a[48:51], v56, s[24:27], 0 offen offset:1024// 0000000040C0: E05C1400 80863038
	v_mfma_scale_f32_16x16x128_f8f6f4 v[148:151], a[116:119], v[212:215], v[148:151], v39, v24 op_sel_hi:[0,0,0] cbsz:4 blgp:4// 0000000040C8: D3AC6800 18023127 D3AD0C94 8E53A974
	v_mfma_scale_f32_16x16x128_f8f6f4 v[180:183], a[116:119], v[220:223], v[180:183], v39, v24 op_sel_hi:[0,0,0] cbsz:4 blgp:4// 0000000040D8: D3AC7800 18023127 D3AD0CB4 8ED3B974
	buffer_load_dwordx4 a[52:55], v57, s[24:27], 0 offen offset:1024// 0000000040E8: E05C1400 80863439
	s_waitcnt vmcnt(18)                                        // 0000000040F0: BF8C4F72
	v_mfma_scale_f32_16x16x128_f8f6f4 v[152:155], a[120:123], v[212:215], v[152:155], v40, v24 op_sel_hi:[0,0,0] cbsz:4 blgp:4// 0000000040F4: D3AC6000 18023128 D3AD0C98 8E63A978
	v_mfma_scale_f32_16x16x128_f8f6f4 v[184:187], a[120:123], v[220:223], v[184:187], v40, v24 op_sel_hi:[0,0,0] cbsz:4 blgp:4// 000000004104: D3AC7000 18023128 D3AD0CB8 8EE3B978
	buffer_load_dwordx4 a[56:59], v58, s[24:27], 0 offen offset:1024// 000000004114: E05C1400 8086383A
	v_mfma_scale_f32_16x16x128_f8f6f4 v[156:159], a[124:127], v[212:215], v[156:159], v40, v24 op_sel_hi:[0,0,0] cbsz:4 blgp:4// 00000000411C: D3AC6800 18023128 D3AD0C9C 8E73A97C
	v_mfma_scale_f32_16x16x128_f8f6f4 v[188:191], a[124:127], v[220:223], v[188:191], v40, v24 op_sel_hi:[0,0,0] cbsz:4 blgp:4// 00000000412C: D3AC7800 18023128 D3AD0CBC 8EF3B97C
	buffer_load_dwordx4 a[60:63], v59, s[24:27], 0 offen offset:1024// 00000000413C: E05C1400 80863C3B
	s_add_u32 s60, 0x200, s80                                  // 000000004144: 803C50FF 00000200
	s_cmp_lt_u32 s60, s81                                      // 00000000414C: BF0A513C
	s_cselect_b32 s57, s57, 0                                  // 000000004150: 85398039
	s_cselect_b32 s3, s3, 0                                    // 000000004154: 85038003
	s_add_u32 s60, 0x200, s80                                  // 000000004158: 803C50FF 00000200
	s_cmp_lt_u32 s60, s81                                      // 000000004160: BF0A513C
	s_cselect_b32 s58, s58, 0                                  // 000000004164: 853A803A
	s_add_u32 s20, s57, s20                                    // 000000004168: 80141439
	s_addc_u32 s21, 0, s21                                     // 00000000416C: 82151580
	s_add_u32 s28, s3, s28                                     // 000000004170: 801C1C03
	s_addc_u32 s29, 0, s29                                     // 000000004174: 821D1D80
	s_add_u32 s24, s58, s24                                    // 000000004178: 8018183A
	s_addc_u32 s25, 0, s25                                     // 00000000417C: 82191980
	s_add_u32 s92, s90, s92                                    // 000000004180: 805C5C5A
	s_addc_u32 s93, 0, s93                                     // 000000004184: 825D5D80
	s_addk_i32 s80, 0x100                                      // 000000004188: B7500100
	s_cmp_lt_i32 s80, s81                                      // 00000000418C: BF045150
	s_cbranch_scc0 label_05A6                                  // 000000004190: BF840001
	s_branch label_0291                                        // 000000004194: BF82FCEB

0000000000004198 <label_05A6>:
	s_mov_b32 s20, 0                                           // 000000004198: BE940080
	s_cmp_lt_u32 s89, s66                                      // 00000000419C: BF0A4259
	s_cselect_b32 s60, 0, 1                                    // 0000000041A0: 853C8180
	s_lshl1_add_u32 s20, s20, s60                              // 0000000041A4: 97143C14
	s_cmp_lt_u32 s88, s66                                      // 0000000041A8: BF0A4258
	s_cselect_b32 s60, 0, 1                                    // 0000000041AC: 853C8180
	s_lshl1_add_u32 s20, s20, s60                              // 0000000041B0: 97143C14
	s_cmp_lt_u32 s87, s66                                      // 0000000041B4: BF0A4257
	s_cselect_b32 s60, 0, 1                                    // 0000000041B8: 853C8180
	s_lshl1_add_u32 s20, s20, s60                              // 0000000041BC: 97143C14
	s_cmp_lt_u32 s86, s66                                      // 0000000041C0: BF0A4256
	s_cselect_b32 s60, 0, 1                                    // 0000000041C4: 853C8180
	s_lshl1_add_u32 s20, s20, s60                              // 0000000041C8: 97143C14
	s_cmp_lt_u32 s85, s66                                      // 0000000041CC: BF0A4255
	s_cselect_b32 s60, 0, 1                                    // 0000000041D0: 853C8180
	s_lshl1_add_u32 s20, s20, s60                              // 0000000041D4: 97143C14
	s_cmp_lt_u32 s84, s66                                      // 0000000041D8: BF0A4254
	s_cselect_b32 s60, 0, 1                                    // 0000000041DC: 853C8180
	s_lshl1_add_u32 s20, s20, s60                              // 0000000041E0: 97143C14
	s_cmp_lt_u32 s83, s66                                      // 0000000041E4: BF0A4253
	s_cselect_b32 s60, 0, 1                                    // 0000000041E8: 853C8180
	s_lshl1_add_u32 s20, s20, s60                              // 0000000041EC: 97143C14
	s_cmp_lt_u32 s82, s66                                      // 0000000041F0: BF0A4252
	s_cselect_b32 s60, 0, 1                                    // 0000000041F4: 853C8180
	s_lshl1_add_u32 s20, s20, s60                              // 0000000041F8: 97143C14
	v_mov_b32_e32 v1, 0xbfcc4231                               // 0000000041FC: 7E0202FF BFCC4231
	s_waitcnt vmcnt(14)                                        // 000000004204: BF8C0F7E
	buffer_load_dwordx4 a[0:3], v60, s[12:15], 0 offen         // 000000004208: E05C1000 8083003C
	v_mul_f32_e64 v2, -v64, s6                                 // 000000004210: D1050002 20000D40
	v_mul_f32_e64 v3, -v65, s6                                 // 000000004218: D1050003 20000D41
	v_mul_f32_e64 v4, -v66, s6                                 // 000000004220: D1050004 20000D42
	v_mul_f32_e64 v5, -v67, s6                                 // 000000004228: D1050005 20000D43
	v_exp_f32_e32 v2, v2                                       // 000000004230: 7E044102
	v_exp_f32_e32 v3, v3                                       // 000000004234: 7E064103
	v_exp_f32_e32 v4, v4                                       // 000000004238: 7E084104
	v_exp_f32_e32 v5, v5                                       // 00000000423C: 7E0A4105
	buffer_load_dwordx4 a[4:7], v61, s[12:15], 0 offen         // 000000004240: E05C1000 8083043D
	v_add_f32_e64 v2, v2, 1.0                                  // 000000004248: D1010002 0001E502
	v_add_f32_e64 v3, v3, 1.0                                  // 000000004250: D1010003 0001E503
	v_add_f32_e64 v4, v4, 1.0                                  // 000000004258: D1010004 0001E504
	v_add_f32_e64 v5, v5, 1.0                                  // 000000004260: D1010005 0001E505
	v_rcp_f32_e32 v2, v2                                       // 000000004268: 7E044502
	v_rcp_f32_e32 v3, v3                                       // 00000000426C: 7E064503
	v_rcp_f32_e32 v4, v4                                       // 000000004270: 7E084504
	v_rcp_f32_e32 v5, v5                                       // 000000004274: 7E0A4505
	v_mul_f32_e32 v64, v64, v2                                 // 000000004278: 0A800540
	v_mul_f32_e32 v65, v65, v3                                 // 00000000427C: 0A820741
	v_mul_f32_e32 v66, v66, v4                                 // 000000004280: 0A840942
	v_mul_f32_e32 v67, v67, v5                                 // 000000004284: 0A860B43
	v_mul_f32_e32 v64, v64, v128                               // 000000004288: 0A810140
	v_mul_f32_e32 v65, v65, v129                               // 00000000428C: 0A830341
	v_mul_f32_e32 v66, v66, v130                               // 000000004290: 0A850542
	v_mul_f32_e32 v67, v67, v131                               // 000000004294: 0A870743
	s_waitcnt vmcnt(14)                                        // 000000004298: BF8C0F7E
	buffer_load_dwordx4 a[8:11], v62, s[12:15], 0 offen        // 00000000429C: E05C1000 8083083E
	v_mul_f32_e64 v2, -v68, s6                                 // 0000000042A4: D1050002 20000D44
	v_mul_f32_e64 v3, -v69, s6                                 // 0000000042AC: D1050003 20000D45
	v_mul_f32_e64 v4, -v70, s6                                 // 0000000042B4: D1050004 20000D46
	v_mul_f32_e64 v5, -v71, s6                                 // 0000000042BC: D1050005 20000D47
	v_exp_f32_e32 v2, v2                                       // 0000000042C4: 7E044102
	v_exp_f32_e32 v3, v3                                       // 0000000042C8: 7E064103
	v_exp_f32_e32 v4, v4                                       // 0000000042CC: 7E084104
	v_exp_f32_e32 v5, v5                                       // 0000000042D0: 7E0A4105
	buffer_load_dwordx4 a[12:15], v63, s[12:15], 0 offen       // 0000000042D4: E05C1000 80830C3F
	v_add_f32_e64 v2, v2, 1.0                                  // 0000000042DC: D1010002 0001E502
	v_add_f32_e64 v3, v3, 1.0                                  // 0000000042E4: D1010003 0001E503
	v_add_f32_e64 v4, v4, 1.0                                  // 0000000042EC: D1010004 0001E504
	v_add_f32_e64 v5, v5, 1.0                                  // 0000000042F4: D1010005 0001E505
	v_rcp_f32_e32 v2, v2                                       // 0000000042FC: 7E044502
	v_rcp_f32_e32 v3, v3                                       // 000000004300: 7E064503
	v_rcp_f32_e32 v4, v4                                       // 000000004304: 7E084504
	v_rcp_f32_e32 v5, v5                                       // 000000004308: 7E0A4505
	v_mul_f32_e32 v68, v68, v2                                 // 00000000430C: 0A880544
	v_mul_f32_e32 v69, v69, v3                                 // 000000004310: 0A8A0745
	v_mul_f32_e32 v70, v70, v4                                 // 000000004314: 0A8C0946
	v_mul_f32_e32 v71, v71, v5                                 // 000000004318: 0A8E0B47
	v_mul_f32_e32 v68, v68, v132                               // 00000000431C: 0A890944
	v_mul_f32_e32 v69, v69, v133                               // 000000004320: 0A8B0B45
	v_mul_f32_e32 v70, v70, v134                               // 000000004324: 0A8D0D46
	v_mul_f32_e32 v71, v71, v135                               // 000000004328: 0A8F0F47
	s_waitcnt vmcnt(14)                                        // 00000000432C: BF8C0F7E
	buffer_load_dwordx4 a[16:19], v60, s[12:15], 0 offen offset:1024// 000000004330: E05C1400 8083103C
	v_mul_f32_e64 v2, -v72, s6                                 // 000000004338: D1050002 20000D48
	v_mul_f32_e64 v3, -v73, s6                                 // 000000004340: D1050003 20000D49
	v_mul_f32_e64 v4, -v74, s6                                 // 000000004348: D1050004 20000D4A
	v_mul_f32_e64 v5, -v75, s6                                 // 000000004350: D1050005 20000D4B
	v_exp_f32_e32 v2, v2                                       // 000000004358: 7E044102
	v_exp_f32_e32 v3, v3                                       // 00000000435C: 7E064103
	v_exp_f32_e32 v4, v4                                       // 000000004360: 7E084104
	v_exp_f32_e32 v5, v5                                       // 000000004364: 7E0A4105
	buffer_load_dwordx4 a[20:23], v61, s[12:15], 0 offen offset:1024// 000000004368: E05C1400 8083143D
	v_add_f32_e64 v2, v2, 1.0                                  // 000000004370: D1010002 0001E502
	v_add_f32_e64 v3, v3, 1.0                                  // 000000004378: D1010003 0001E503
	v_add_f32_e64 v4, v4, 1.0                                  // 000000004380: D1010004 0001E504
	v_add_f32_e64 v5, v5, 1.0                                  // 000000004388: D1010005 0001E505
	v_rcp_f32_e32 v2, v2                                       // 000000004390: 7E044502
	v_rcp_f32_e32 v3, v3                                       // 000000004394: 7E064503
	v_rcp_f32_e32 v4, v4                                       // 000000004398: 7E084504
	v_rcp_f32_e32 v5, v5                                       // 00000000439C: 7E0A4505
	v_mul_f32_e32 v72, v72, v2                                 // 0000000043A0: 0A900548
	v_mul_f32_e32 v73, v73, v3                                 // 0000000043A4: 0A920749
	v_mul_f32_e32 v74, v74, v4                                 // 0000000043A8: 0A94094A
	v_mul_f32_e32 v75, v75, v5                                 // 0000000043AC: 0A960B4B
	v_mul_f32_e32 v72, v72, v136                               // 0000000043B0: 0A911148
	v_mul_f32_e32 v73, v73, v137                               // 0000000043B4: 0A931349
	v_mul_f32_e32 v74, v74, v138                               // 0000000043B8: 0A95154A
	v_mul_f32_e32 v75, v75, v139                               // 0000000043BC: 0A97174B
	s_waitcnt vmcnt(14)                                        // 0000000043C0: BF8C0F7E
	buffer_load_dwordx4 a[24:27], v62, s[12:15], 0 offen offset:1024// 0000000043C4: E05C1400 8083183E
	v_mul_f32_e64 v2, -v76, s6                                 // 0000000043CC: D1050002 20000D4C
	v_mul_f32_e64 v3, -v77, s6                                 // 0000000043D4: D1050003 20000D4D
	v_mul_f32_e64 v4, -v78, s6                                 // 0000000043DC: D1050004 20000D4E
	v_mul_f32_e64 v5, -v79, s6                                 // 0000000043E4: D1050005 20000D4F
	v_exp_f32_e32 v2, v2                                       // 0000000043EC: 7E044102
	v_exp_f32_e32 v3, v3                                       // 0000000043F0: 7E064103
	v_exp_f32_e32 v4, v4                                       // 0000000043F4: 7E084104
	v_exp_f32_e32 v5, v5                                       // 0000000043F8: 7E0A4105
	buffer_load_dwordx4 a[28:31], v63, s[12:15], 0 offen offset:1024// 0000000043FC: E05C1400 80831C3F
	v_add_f32_e64 v2, v2, 1.0                                  // 000000004404: D1010002 0001E502
	v_add_f32_e64 v3, v3, 1.0                                  // 00000000440C: D1010003 0001E503
	v_add_f32_e64 v4, v4, 1.0                                  // 000000004414: D1010004 0001E504
	v_add_f32_e64 v5, v5, 1.0                                  // 00000000441C: D1010005 0001E505
	v_rcp_f32_e32 v2, v2                                       // 000000004424: 7E044502
	v_rcp_f32_e32 v3, v3                                       // 000000004428: 7E064503
	v_rcp_f32_e32 v4, v4                                       // 00000000442C: 7E084504
	v_rcp_f32_e32 v5, v5                                       // 000000004430: 7E0A4505
	v_mul_f32_e32 v76, v76, v2                                 // 000000004434: 0A98054C
	v_mul_f32_e32 v77, v77, v3                                 // 000000004438: 0A9A074D
	v_mul_f32_e32 v78, v78, v4                                 // 00000000443C: 0A9C094E
	v_mul_f32_e32 v79, v79, v5                                 // 000000004440: 0A9E0B4F
	v_mul_f32_e32 v76, v76, v140                               // 000000004444: 0A99194C
	v_mul_f32_e32 v77, v77, v141                               // 000000004448: 0A9B1B4D
	v_mul_f32_e32 v78, v78, v142                               // 00000000444C: 0A9D1D4E
	v_mul_f32_e32 v79, v79, v143                               // 000000004450: 0A9F1F4F
	s_waitcnt vmcnt(14)                                        // 000000004454: BF8C0F7E
	buffer_load_dwordx4 a[32:35], v60, s[12:15], 0 offen offset:2048// 000000004458: E05C1800 8083203C
	v_mul_f32_e64 v2, -v80, s6                                 // 000000004460: D1050002 20000D50
	v_mul_f32_e64 v3, -v81, s6                                 // 000000004468: D1050003 20000D51
	v_mul_f32_e64 v4, -v82, s6                                 // 000000004470: D1050004 20000D52
	v_mul_f32_e64 v5, -v83, s6                                 // 000000004478: D1050005 20000D53
	v_exp_f32_e32 v2, v2                                       // 000000004480: 7E044102
	v_exp_f32_e32 v3, v3                                       // 000000004484: 7E064103
	v_exp_f32_e32 v4, v4                                       // 000000004488: 7E084104
	v_exp_f32_e32 v5, v5                                       // 00000000448C: 7E0A4105
	buffer_load_dwordx4 a[36:39], v61, s[12:15], 0 offen offset:2048// 000000004490: E05C1800 8083243D
	v_add_f32_e64 v2, v2, 1.0                                  // 000000004498: D1010002 0001E502
	v_add_f32_e64 v3, v3, 1.0                                  // 0000000044A0: D1010003 0001E503
	v_add_f32_e64 v4, v4, 1.0                                  // 0000000044A8: D1010004 0001E504
	v_add_f32_e64 v5, v5, 1.0                                  // 0000000044B0: D1010005 0001E505
	v_rcp_f32_e32 v2, v2                                       // 0000000044B8: 7E044502
	v_rcp_f32_e32 v3, v3                                       // 0000000044BC: 7E064503
	v_rcp_f32_e32 v4, v4                                       // 0000000044C0: 7E084504
	v_rcp_f32_e32 v5, v5                                       // 0000000044C4: 7E0A4505
	v_mul_f32_e32 v80, v80, v2                                 // 0000000044C8: 0AA00550
	v_mul_f32_e32 v81, v81, v3                                 // 0000000044CC: 0AA20751
	v_mul_f32_e32 v82, v82, v4                                 // 0000000044D0: 0AA40952
	v_mul_f32_e32 v83, v83, v5                                 // 0000000044D4: 0AA60B53
	v_mul_f32_e32 v80, v80, v144                               // 0000000044D8: 0AA12150
	v_mul_f32_e32 v81, v81, v145                               // 0000000044DC: 0AA32351
	v_mul_f32_e32 v82, v82, v146                               // 0000000044E0: 0AA52552
	v_mul_f32_e32 v83, v83, v147                               // 0000000044E4: 0AA72753
	s_waitcnt vmcnt(14)                                        // 0000000044E8: BF8C0F7E
	buffer_load_dwordx4 a[40:43], v62, s[12:15], 0 offen offset:2048// 0000000044EC: E05C1800 8083283E
	v_mul_f32_e64 v2, -v84, s6                                 // 0000000044F4: D1050002 20000D54
	v_mul_f32_e64 v3, -v85, s6                                 // 0000000044FC: D1050003 20000D55
	v_mul_f32_e64 v4, -v86, s6                                 // 000000004504: D1050004 20000D56
	v_mul_f32_e64 v5, -v87, s6                                 // 00000000450C: D1050005 20000D57
	v_exp_f32_e32 v2, v2                                       // 000000004514: 7E044102
	v_exp_f32_e32 v3, v3                                       // 000000004518: 7E064103
	v_exp_f32_e32 v4, v4                                       // 00000000451C: 7E084104
	v_exp_f32_e32 v5, v5                                       // 000000004520: 7E0A4105
	buffer_load_dwordx4 a[44:47], v63, s[12:15], 0 offen offset:2048// 000000004524: E05C1800 80832C3F
	v_add_f32_e64 v2, v2, 1.0                                  // 00000000452C: D1010002 0001E502
	v_add_f32_e64 v3, v3, 1.0                                  // 000000004534: D1010003 0001E503
	v_add_f32_e64 v4, v4, 1.0                                  // 00000000453C: D1010004 0001E504
	v_add_f32_e64 v5, v5, 1.0                                  // 000000004544: D1010005 0001E505
	v_rcp_f32_e32 v2, v2                                       // 00000000454C: 7E044502
	v_rcp_f32_e32 v3, v3                                       // 000000004550: 7E064503
	v_rcp_f32_e32 v4, v4                                       // 000000004554: 7E084504
	v_rcp_f32_e32 v5, v5                                       // 000000004558: 7E0A4505
	v_mul_f32_e32 v84, v84, v2                                 // 00000000455C: 0AA80554
	v_mul_f32_e32 v85, v85, v3                                 // 000000004560: 0AAA0755
	v_mul_f32_e32 v86, v86, v4                                 // 000000004564: 0AAC0956
	v_mul_f32_e32 v87, v87, v5                                 // 000000004568: 0AAE0B57
	v_mul_f32_e32 v84, v84, v148                               // 00000000456C: 0AA92954
	v_mul_f32_e32 v85, v85, v149                               // 000000004570: 0AAB2B55
	v_mul_f32_e32 v86, v86, v150                               // 000000004574: 0AAD2D56
	v_mul_f32_e32 v87, v87, v151                               // 000000004578: 0AAF2F57
	s_waitcnt vmcnt(14)                                        // 00000000457C: BF8C0F7E
	buffer_load_dwordx4 a[48:51], v60, s[12:15], 0 offen offset:3072// 000000004580: E05C1C00 8083303C
	v_mul_f32_e64 v2, -v88, s6                                 // 000000004588: D1050002 20000D58
	v_mul_f32_e64 v3, -v89, s6                                 // 000000004590: D1050003 20000D59
	v_mul_f32_e64 v4, -v90, s6                                 // 000000004598: D1050004 20000D5A
	v_mul_f32_e64 v5, -v91, s6                                 // 0000000045A0: D1050005 20000D5B
	v_exp_f32_e32 v2, v2                                       // 0000000045A8: 7E044102
	v_exp_f32_e32 v3, v3                                       // 0000000045AC: 7E064103
	v_exp_f32_e32 v4, v4                                       // 0000000045B0: 7E084104
	v_exp_f32_e32 v5, v5                                       // 0000000045B4: 7E0A4105
	buffer_load_dwordx4 a[52:55], v61, s[12:15], 0 offen offset:3072// 0000000045B8: E05C1C00 8083343D
	v_add_f32_e64 v2, v2, 1.0                                  // 0000000045C0: D1010002 0001E502
	v_add_f32_e64 v3, v3, 1.0                                  // 0000000045C8: D1010003 0001E503
	v_add_f32_e64 v4, v4, 1.0                                  // 0000000045D0: D1010004 0001E504
	v_add_f32_e64 v5, v5, 1.0                                  // 0000000045D8: D1010005 0001E505
	v_rcp_f32_e32 v2, v2                                       // 0000000045E0: 7E044502
	v_rcp_f32_e32 v3, v3                                       // 0000000045E4: 7E064503
	v_rcp_f32_e32 v4, v4                                       // 0000000045E8: 7E084504
	v_rcp_f32_e32 v5, v5                                       // 0000000045EC: 7E0A4505
	v_mul_f32_e32 v88, v88, v2                                 // 0000000045F0: 0AB00558
	v_mul_f32_e32 v89, v89, v3                                 // 0000000045F4: 0AB20759
	v_mul_f32_e32 v90, v90, v4                                 // 0000000045F8: 0AB4095A
	v_mul_f32_e32 v91, v91, v5                                 // 0000000045FC: 0AB60B5B
	v_mul_f32_e32 v88, v88, v152                               // 000000004600: 0AB13158
	v_mul_f32_e32 v89, v89, v153                               // 000000004604: 0AB33359
	v_mul_f32_e32 v90, v90, v154                               // 000000004608: 0AB5355A
	v_mul_f32_e32 v91, v91, v155                               // 00000000460C: 0AB7375B
	s_waitcnt vmcnt(14)                                        // 000000004610: BF8C0F7E
	buffer_load_dwordx4 a[56:59], v62, s[12:15], 0 offen offset:3072// 000000004614: E05C1C00 8083383E
	v_mul_f32_e64 v2, -v92, s6                                 // 00000000461C: D1050002 20000D5C
	v_mul_f32_e64 v3, -v93, s6                                 // 000000004624: D1050003 20000D5D
	v_mul_f32_e64 v4, -v94, s6                                 // 00000000462C: D1050004 20000D5E
	v_mul_f32_e64 v5, -v95, s6                                 // 000000004634: D1050005 20000D5F
	v_exp_f32_e32 v2, v2                                       // 00000000463C: 7E044102
	v_exp_f32_e32 v3, v3                                       // 000000004640: 7E064103
	v_exp_f32_e32 v4, v4                                       // 000000004644: 7E084104
	v_exp_f32_e32 v5, v5                                       // 000000004648: 7E0A4105
	buffer_load_dwordx4 a[60:63], v63, s[12:15], 0 offen offset:3072// 00000000464C: E05C1C00 80833C3F
	v_add_f32_e64 v2, v2, 1.0                                  // 000000004654: D1010002 0001E502
	v_add_f32_e64 v3, v3, 1.0                                  // 00000000465C: D1010003 0001E503
	v_add_f32_e64 v4, v4, 1.0                                  // 000000004664: D1010004 0001E504
	v_add_f32_e64 v5, v5, 1.0                                  // 00000000466C: D1010005 0001E505
	v_rcp_f32_e32 v2, v2                                       // 000000004674: 7E044502
	v_rcp_f32_e32 v3, v3                                       // 000000004678: 7E064503
	v_rcp_f32_e32 v4, v4                                       // 00000000467C: 7E084504
	v_rcp_f32_e32 v5, v5                                       // 000000004680: 7E0A4505
	v_mul_f32_e32 v92, v92, v2                                 // 000000004684: 0AB8055C
	v_mul_f32_e32 v93, v93, v3                                 // 000000004688: 0ABA075D
	v_mul_f32_e32 v94, v94, v4                                 // 00000000468C: 0ABC095E
	v_mul_f32_e32 v95, v95, v5                                 // 000000004690: 0ABE0B5F
	v_mul_f32_e32 v92, v92, v156                               // 000000004694: 0AB9395C
	v_mul_f32_e32 v93, v93, v157                               // 000000004698: 0ABB3B5D
	v_mul_f32_e32 v94, v94, v158                               // 00000000469C: 0ABD3D5E
	v_mul_f32_e32 v95, v95, v159                               // 0000000046A0: 0ABF3F5F
	s_waitcnt vmcnt(14)                                        // 0000000046A4: BF8C0F7E
	v_mul_f32_e64 v2, -v96, s6                                 // 0000000046A8: D1050002 20000D60
	v_mul_f32_e64 v3, -v97, s6                                 // 0000000046B0: D1050003 20000D61
	v_mul_f32_e64 v4, -v98, s6                                 // 0000000046B8: D1050004 20000D62
	v_mul_f32_e64 v5, -v99, s6                                 // 0000000046C0: D1050005 20000D63
	v_exp_f32_e32 v2, v2                                       // 0000000046C8: 7E044102
	v_exp_f32_e32 v3, v3                                       // 0000000046CC: 7E064103
	v_exp_f32_e32 v4, v4                                       // 0000000046D0: 7E084104
	v_exp_f32_e32 v5, v5                                       // 0000000046D4: 7E0A4105
	v_add_f32_e64 v2, v2, 1.0                                  // 0000000046D8: D1010002 0001E502
	v_add_f32_e64 v3, v3, 1.0                                  // 0000000046E0: D1010003 0001E503
	v_add_f32_e64 v4, v4, 1.0                                  // 0000000046E8: D1010004 0001E504
	v_add_f32_e64 v5, v5, 1.0                                  // 0000000046F0: D1010005 0001E505
	v_rcp_f32_e32 v2, v2                                       // 0000000046F8: 7E044502
	v_rcp_f32_e32 v3, v3                                       // 0000000046FC: 7E064503
	v_rcp_f32_e32 v4, v4                                       // 000000004700: 7E084504
	v_rcp_f32_e32 v5, v5                                       // 000000004704: 7E0A4505
	v_mul_f32_e32 v96, v96, v2                                 // 000000004708: 0AC00560
	v_mul_f32_e32 v97, v97, v3                                 // 00000000470C: 0AC20761
	v_mul_f32_e32 v98, v98, v4                                 // 000000004710: 0AC40962
	v_mul_f32_e32 v99, v99, v5                                 // 000000004714: 0AC60B63
	v_mul_f32_e32 v96, v96, v160                               // 000000004718: 0AC14160
	v_mul_f32_e32 v97, v97, v161                               // 00000000471C: 0AC34361
	v_mul_f32_e32 v98, v98, v162                               // 000000004720: 0AC54562
	v_mul_f32_e32 v99, v99, v163                               // 000000004724: 0AC74763
	s_waitcnt vmcnt(14)                                        // 000000004728: BF8C0F7E
	v_mul_f32_e64 v2, -v100, s6                                // 00000000472C: D1050002 20000D64
	v_mul_f32_e64 v3, -v101, s6                                // 000000004734: D1050003 20000D65
	v_mul_f32_e64 v4, -v102, s6                                // 00000000473C: D1050004 20000D66
	v_mul_f32_e64 v5, -v103, s6                                // 000000004744: D1050005 20000D67
	v_exp_f32_e32 v2, v2                                       // 00000000474C: 7E044102
	v_exp_f32_e32 v3, v3                                       // 000000004750: 7E064103
	v_exp_f32_e32 v4, v4                                       // 000000004754: 7E084104
	v_exp_f32_e32 v5, v5                                       // 000000004758: 7E0A4105
	v_add_f32_e64 v2, v2, 1.0                                  // 00000000475C: D1010002 0001E502
	v_add_f32_e64 v3, v3, 1.0                                  // 000000004764: D1010003 0001E503
	v_add_f32_e64 v4, v4, 1.0                                  // 00000000476C: D1010004 0001E504
	v_add_f32_e64 v5, v5, 1.0                                  // 000000004774: D1010005 0001E505
	v_rcp_f32_e32 v2, v2                                       // 00000000477C: 7E044502
	v_rcp_f32_e32 v3, v3                                       // 000000004780: 7E064503
	v_rcp_f32_e32 v4, v4                                       // 000000004784: 7E084504
	v_rcp_f32_e32 v5, v5                                       // 000000004788: 7E0A4505
	v_mul_f32_e32 v100, v100, v2                               // 00000000478C: 0AC80564
	v_mul_f32_e32 v101, v101, v3                               // 000000004790: 0ACA0765
	v_mul_f32_e32 v102, v102, v4                               // 000000004794: 0ACC0966
	v_mul_f32_e32 v103, v103, v5                               // 000000004798: 0ACE0B67
	v_mul_f32_e32 v100, v100, v164                             // 00000000479C: 0AC94964
	v_mul_f32_e32 v101, v101, v165                             // 0000000047A0: 0ACB4B65
	v_mul_f32_e32 v102, v102, v166                             // 0000000047A4: 0ACD4D66
	v_mul_f32_e32 v103, v103, v167                             // 0000000047A8: 0ACF4F67
	s_waitcnt vmcnt(14)                                        // 0000000047AC: BF8C0F7E
	v_mul_f32_e64 v2, -v104, s6                                // 0000000047B0: D1050002 20000D68
	v_mul_f32_e64 v3, -v105, s6                                // 0000000047B8: D1050003 20000D69
	v_mul_f32_e64 v4, -v106, s6                                // 0000000047C0: D1050004 20000D6A
	v_mul_f32_e64 v5, -v107, s6                                // 0000000047C8: D1050005 20000D6B
	v_exp_f32_e32 v2, v2                                       // 0000000047D0: 7E044102
	v_exp_f32_e32 v3, v3                                       // 0000000047D4: 7E064103
	v_exp_f32_e32 v4, v4                                       // 0000000047D8: 7E084104
	v_exp_f32_e32 v5, v5                                       // 0000000047DC: 7E0A4105
	v_add_f32_e64 v2, v2, 1.0                                  // 0000000047E0: D1010002 0001E502
	v_add_f32_e64 v3, v3, 1.0                                  // 0000000047E8: D1010003 0001E503
	v_add_f32_e64 v4, v4, 1.0                                  // 0000000047F0: D1010004 0001E504
	v_add_f32_e64 v5, v5, 1.0                                  // 0000000047F8: D1010005 0001E505
	v_rcp_f32_e32 v2, v2                                       // 000000004800: 7E044502
	v_rcp_f32_e32 v3, v3                                       // 000000004804: 7E064503
	v_rcp_f32_e32 v4, v4                                       // 000000004808: 7E084504
	v_rcp_f32_e32 v5, v5                                       // 00000000480C: 7E0A4505
	v_mul_f32_e32 v104, v104, v2                               // 000000004810: 0AD00568
	v_mul_f32_e32 v105, v105, v3                               // 000000004814: 0AD20769
	v_mul_f32_e32 v106, v106, v4                               // 000000004818: 0AD4096A
	v_mul_f32_e32 v107, v107, v5                               // 00000000481C: 0AD60B6B
	v_mul_f32_e32 v104, v104, v168                             // 000000004820: 0AD15168
	v_mul_f32_e32 v105, v105, v169                             // 000000004824: 0AD35369
	v_mul_f32_e32 v106, v106, v170                             // 000000004828: 0AD5556A
	v_mul_f32_e32 v107, v107, v171                             // 00000000482C: 0AD7576B
	s_waitcnt vmcnt(14)                                        // 000000004830: BF8C0F7E
	v_mul_f32_e64 v2, -v108, s6                                // 000000004834: D1050002 20000D6C
	v_mul_f32_e64 v3, -v109, s6                                // 00000000483C: D1050003 20000D6D
	v_mul_f32_e64 v4, -v110, s6                                // 000000004844: D1050004 20000D6E
	v_mul_f32_e64 v5, -v111, s6                                // 00000000484C: D1050005 20000D6F
	v_exp_f32_e32 v2, v2                                       // 000000004854: 7E044102
	v_exp_f32_e32 v3, v3                                       // 000000004858: 7E064103
	v_exp_f32_e32 v4, v4                                       // 00000000485C: 7E084104
	v_exp_f32_e32 v5, v5                                       // 000000004860: 7E0A4105
	v_add_f32_e64 v2, v2, 1.0                                  // 000000004864: D1010002 0001E502
	v_add_f32_e64 v3, v3, 1.0                                  // 00000000486C: D1010003 0001E503
	v_add_f32_e64 v4, v4, 1.0                                  // 000000004874: D1010004 0001E504
	v_add_f32_e64 v5, v5, 1.0                                  // 00000000487C: D1010005 0001E505
	v_rcp_f32_e32 v2, v2                                       // 000000004884: 7E044502
	v_rcp_f32_e32 v3, v3                                       // 000000004888: 7E064503
	v_rcp_f32_e32 v4, v4                                       // 00000000488C: 7E084504
	v_rcp_f32_e32 v5, v5                                       // 000000004890: 7E0A4505
	v_mul_f32_e32 v108, v108, v2                               // 000000004894: 0AD8056C
	v_mul_f32_e32 v109, v109, v3                               // 000000004898: 0ADA076D
	v_mul_f32_e32 v110, v110, v4                               // 00000000489C: 0ADC096E
	v_mul_f32_e32 v111, v111, v5                               // 0000000048A0: 0ADE0B6F
	v_mul_f32_e32 v108, v108, v172                             // 0000000048A4: 0AD9596C
	v_mul_f32_e32 v109, v109, v173                             // 0000000048A8: 0ADB5B6D
	v_mul_f32_e32 v110, v110, v174                             // 0000000048AC: 0ADD5D6E
	v_mul_f32_e32 v111, v111, v175                             // 0000000048B0: 0ADF5F6F
	s_waitcnt vmcnt(14)                                        // 0000000048B4: BF8C0F7E
	v_mul_f32_e64 v2, -v112, s6                                // 0000000048B8: D1050002 20000D70
	v_mul_f32_e64 v3, -v113, s6                                // 0000000048C0: D1050003 20000D71
	v_mul_f32_e64 v4, -v114, s6                                // 0000000048C8: D1050004 20000D72
	v_mul_f32_e64 v5, -v115, s6                                // 0000000048D0: D1050005 20000D73
	v_exp_f32_e32 v2, v2                                       // 0000000048D8: 7E044102
	v_exp_f32_e32 v3, v3                                       // 0000000048DC: 7E064103
	v_exp_f32_e32 v4, v4                                       // 0000000048E0: 7E084104
	v_exp_f32_e32 v5, v5                                       // 0000000048E4: 7E0A4105
	v_add_f32_e64 v2, v2, 1.0                                  // 0000000048E8: D1010002 0001E502
	v_add_f32_e64 v3, v3, 1.0                                  // 0000000048F0: D1010003 0001E503
	v_add_f32_e64 v4, v4, 1.0                                  // 0000000048F8: D1010004 0001E504
	v_add_f32_e64 v5, v5, 1.0                                  // 000000004900: D1010005 0001E505
	v_rcp_f32_e32 v2, v2                                       // 000000004908: 7E044502
	v_rcp_f32_e32 v3, v3                                       // 00000000490C: 7E064503
	v_rcp_f32_e32 v4, v4                                       // 000000004910: 7E084504
	v_rcp_f32_e32 v5, v5                                       // 000000004914: 7E0A4505
	v_mul_f32_e32 v112, v112, v2                               // 000000004918: 0AE00570
	v_mul_f32_e32 v113, v113, v3                               // 00000000491C: 0AE20771
	v_mul_f32_e32 v114, v114, v4                               // 000000004920: 0AE40972
	v_mul_f32_e32 v115, v115, v5                               // 000000004924: 0AE60B73
	v_mul_f32_e32 v112, v112, v176                             // 000000004928: 0AE16170
	v_mul_f32_e32 v113, v113, v177                             // 00000000492C: 0AE36371
	v_mul_f32_e32 v114, v114, v178                             // 000000004930: 0AE56572
	v_mul_f32_e32 v115, v115, v179                             // 000000004934: 0AE76773
	s_waitcnt vmcnt(14)                                        // 000000004938: BF8C0F7E
	v_mul_f32_e64 v2, -v116, s6                                // 00000000493C: D1050002 20000D74
	v_mul_f32_e64 v3, -v117, s6                                // 000000004944: D1050003 20000D75
	v_mul_f32_e64 v4, -v118, s6                                // 00000000494C: D1050004 20000D76
	v_mul_f32_e64 v5, -v119, s6                                // 000000004954: D1050005 20000D77
	v_exp_f32_e32 v2, v2                                       // 00000000495C: 7E044102
	v_exp_f32_e32 v3, v3                                       // 000000004960: 7E064103
	v_exp_f32_e32 v4, v4                                       // 000000004964: 7E084104
	v_exp_f32_e32 v5, v5                                       // 000000004968: 7E0A4105
	v_add_f32_e64 v2, v2, 1.0                                  // 00000000496C: D1010002 0001E502
	v_add_f32_e64 v3, v3, 1.0                                  // 000000004974: D1010003 0001E503
	v_add_f32_e64 v4, v4, 1.0                                  // 00000000497C: D1010004 0001E504
	v_add_f32_e64 v5, v5, 1.0                                  // 000000004984: D1010005 0001E505
	v_rcp_f32_e32 v2, v2                                       // 00000000498C: 7E044502
	v_rcp_f32_e32 v3, v3                                       // 000000004990: 7E064503
	v_rcp_f32_e32 v4, v4                                       // 000000004994: 7E084504
	v_rcp_f32_e32 v5, v5                                       // 000000004998: 7E0A4505
	v_mul_f32_e32 v116, v116, v2                               // 00000000499C: 0AE80574
	v_mul_f32_e32 v117, v117, v3                               // 0000000049A0: 0AEA0775
	v_mul_f32_e32 v118, v118, v4                               // 0000000049A4: 0AEC0976
	v_mul_f32_e32 v119, v119, v5                               // 0000000049A8: 0AEE0B77
	v_mul_f32_e32 v116, v116, v180                             // 0000000049AC: 0AE96974
	v_mul_f32_e32 v117, v117, v181                             // 0000000049B0: 0AEB6B75
	v_mul_f32_e32 v118, v118, v182                             // 0000000049B4: 0AED6D76
	v_mul_f32_e32 v119, v119, v183                             // 0000000049B8: 0AEF6F77
	s_waitcnt vmcnt(14)                                        // 0000000049BC: BF8C0F7E
	v_mul_f32_e64 v2, -v120, s6                                // 0000000049C0: D1050002 20000D78
	v_mul_f32_e64 v3, -v121, s6                                // 0000000049C8: D1050003 20000D79
	v_mul_f32_e64 v4, -v122, s6                                // 0000000049D0: D1050004 20000D7A
	v_mul_f32_e64 v5, -v123, s6                                // 0000000049D8: D1050005 20000D7B
	v_exp_f32_e32 v2, v2                                       // 0000000049E0: 7E044102
	v_exp_f32_e32 v3, v3                                       // 0000000049E4: 7E064103
	v_exp_f32_e32 v4, v4                                       // 0000000049E8: 7E084104
	v_exp_f32_e32 v5, v5                                       // 0000000049EC: 7E0A4105
	v_add_f32_e64 v2, v2, 1.0                                  // 0000000049F0: D1010002 0001E502
	v_add_f32_e64 v3, v3, 1.0                                  // 0000000049F8: D1010003 0001E503
	v_add_f32_e64 v4, v4, 1.0                                  // 000000004A00: D1010004 0001E504
	v_add_f32_e64 v5, v5, 1.0                                  // 000000004A08: D1010005 0001E505
	v_rcp_f32_e32 v2, v2                                       // 000000004A10: 7E044502
	v_rcp_f32_e32 v3, v3                                       // 000000004A14: 7E064503
	v_rcp_f32_e32 v4, v4                                       // 000000004A18: 7E084504
	v_rcp_f32_e32 v5, v5                                       // 000000004A1C: 7E0A4505
	v_mul_f32_e32 v120, v120, v2                               // 000000004A20: 0AF00578
	v_mul_f32_e32 v121, v121, v3                               // 000000004A24: 0AF20779
	v_mul_f32_e32 v122, v122, v4                               // 000000004A28: 0AF4097A
	v_mul_f32_e32 v123, v123, v5                               // 000000004A2C: 0AF60B7B
	v_mul_f32_e32 v120, v120, v184                             // 000000004A30: 0AF17178
	v_mul_f32_e32 v121, v121, v185                             // 000000004A34: 0AF37379
	v_mul_f32_e32 v122, v122, v186                             // 000000004A38: 0AF5757A
	v_mul_f32_e32 v123, v123, v187                             // 000000004A3C: 0AF7777B
	s_waitcnt vmcnt(14)                                        // 000000004A40: BF8C0F7E
	v_mul_f32_e64 v2, -v124, s6                                // 000000004A44: D1050002 20000D7C
	v_mul_f32_e64 v3, -v125, s6                                // 000000004A4C: D1050003 20000D7D
	v_mul_f32_e64 v4, -v126, s6                                // 000000004A54: D1050004 20000D7E
	v_mul_f32_e64 v5, -v127, s6                                // 000000004A5C: D1050005 20000D7F
	v_exp_f32_e32 v2, v2                                       // 000000004A64: 7E044102
	v_exp_f32_e32 v3, v3                                       // 000000004A68: 7E064103
	v_exp_f32_e32 v4, v4                                       // 000000004A6C: 7E084104
	v_exp_f32_e32 v5, v5                                       // 000000004A70: 7E0A4105
	v_add_f32_e64 v2, v2, 1.0                                  // 000000004A74: D1010002 0001E502
	v_add_f32_e64 v3, v3, 1.0                                  // 000000004A7C: D1010003 0001E503
	v_add_f32_e64 v4, v4, 1.0                                  // 000000004A84: D1010004 0001E504
	v_add_f32_e64 v5, v5, 1.0                                  // 000000004A8C: D1010005 0001E505
	v_rcp_f32_e32 v2, v2                                       // 000000004A94: 7E044502
	v_rcp_f32_e32 v3, v3                                       // 000000004A98: 7E064503
	v_rcp_f32_e32 v4, v4                                       // 000000004A9C: 7E084504
	v_rcp_f32_e32 v5, v5                                       // 000000004AA0: 7E0A4505
	v_mul_f32_e32 v124, v124, v2                               // 000000004AA4: 0AF8057C
	v_mul_f32_e32 v125, v125, v3                               // 000000004AA8: 0AFA077D
	v_mul_f32_e32 v126, v126, v4                               // 000000004AAC: 0AFC097E
	v_mul_f32_e32 v127, v127, v5                               // 000000004AB0: 0AFE0B7F
	v_mul_f32_e32 v124, v124, v188                             // 000000004AB4: 0AF9797C
	v_mul_f32_e32 v125, v125, v189                             // 000000004AB8: 0AFB7B7D
	v_mul_f32_e32 v126, v126, v190                             // 000000004ABC: 0AFD7D7E
	v_mul_f32_e32 v127, v127, v191                             // 000000004AC0: 0AFF7F7F
	v_lshlrev_b32_e32 v2, 2, v0                                // 000000004AC4: 24040082
	s_mul_i32 s60, s82, s71                                    // 000000004AC8: 923C4752
	v_add_u32_e64 v144, v2, s60                                // 000000004ACC: D1340090 00007902
	v_mov_b32_e32 v145, 0                                      // 000000004AD4: 7F220280
	s_mul_i32 s60, s83, s71                                    // 000000004AD8: 923C4753
	v_add_u32_e64 v146, v2, s60                                // 000000004ADC: D1340092 00007902
	v_mov_b32_e32 v147, 0                                      // 000000004AE4: 7F260280
	s_mul_i32 s60, s84, s71                                    // 000000004AE8: 923C4754
	v_add_u32_e64 v148, v2, s60                                // 000000004AEC: D1340094 00007902
	v_mov_b32_e32 v149, 0                                      // 000000004AF4: 7F2A0280
	s_mul_i32 s60, s85, s71                                    // 000000004AF8: 923C4755
	v_add_u32_e64 v150, v2, s60                                // 000000004AFC: D1340096 00007902
	v_mov_b32_e32 v151, 0                                      // 000000004B04: 7F2E0280
	s_mul_i32 s60, s86, s71                                    // 000000004B08: 923C4756
	v_add_u32_e64 v152, v2, s60                                // 000000004B0C: D1340098 00007902
	v_mov_b32_e32 v153, 0                                      // 000000004B14: 7F320280
	s_mul_i32 s60, s87, s71                                    // 000000004B18: 923C4757
	v_add_u32_e64 v154, v2, s60                                // 000000004B1C: D134009A 00007902
	v_mov_b32_e32 v155, 0                                      // 000000004B24: 7F360280
	s_mul_i32 s60, s88, s71                                    // 000000004B28: 923C4758
	v_add_u32_e64 v156, v2, s60                                // 000000004B2C: D134009C 00007902
	v_mov_b32_e32 v157, 0                                      // 000000004B34: 7F3A0280
	s_mul_i32 s60, s89, s71                                    // 000000004B38: 923C4759
	v_add_u32_e64 v158, v2, s60                                // 000000004B3C: D134009E 00007902
	v_mov_b32_e32 v159, 0                                      // 000000004B44: 7F3E0280
	buffer_load_dword v25, v10, s[16:19], 0 offen              // 000000004B48: E0501000 8004190A
	buffer_load_dword v26, v11, s[16:19], 0 offen              // 000000004B50: E0501000 80041A0B
	buffer_load_dword v27, v10, s[16:19], 0 offen offset:256   // 000000004B58: E0501100 80041B0A
	buffer_load_dword v28, v11, s[16:19], 0 offen offset:256   // 000000004B60: E0501100 80041C0B
	v_mov_b32_e32 v43, 0x358637bd                              // 000000004B68: 7E5602FF 358637BD
	v_mov_b32_e32 v44, 0x358637bd                              // 000000004B70: 7E5802FF 358637BD
	v_max3_f32 v43, |v64|, |v65|, v43                          // 000000004B78: D1D3032B 04AE8340
	v_max3_f32 v43, |v66|, |v67|, v43                          // 000000004B80: D1D3032B 04AE8742
	v_max3_f32 v43, |v68|, |v69|, v43                          // 000000004B88: D1D3032B 04AE8B44
	v_max3_f32 v43, |v70|, |v71|, v43                          // 000000004B90: D1D3032B 04AE8F46
	v_max3_f32 v44, |v96|, |v97|, v44                          // 000000004B98: D1D3032C 04B2C360
	v_max3_f32 v44, |v98|, |v99|, v44                          // 000000004BA0: D1D3032C 04B2C762
	v_max3_f32 v44, |v100|, |v101|, v44                        // 000000004BA8: D1D3032C 04B2CB64
	v_max3_f32 v44, |v102|, |v103|, v44                        // 000000004BB0: D1D3032C 04B2CF66
	v_mov_b32_e32 v2, v43                                      // 000000004BB8: 7E04032B
	s_nop 1                                                    // 000000004BBC: BF800001
	v_permlane32_swap_b32_e32 v2, v43                          // 000000004BC0: 7E04B52B
	v_max_f32_e32 v43, v2, v43                                 // 000000004BC4: 16565702
	v_mov_b32_e32 v2, v43                                      // 000000004BC8: 7E04032B
	s_nop 1                                                    // 000000004BCC: BF800001
	v_permlane16_swap_b32_e32 v2, v43                          // 000000004BD0: 7E04B32B
	v_max_f32_e32 v43, v2, v43                                 // 000000004BD4: 16565702
	v_mov_b32_e32 v2, v44                                      // 000000004BD8: 7E04032C
	s_nop 1                                                    // 000000004BDC: BF800001
	v_permlane32_swap_b32_e32 v2, v44                          // 000000004BE0: 7E04B52C
	v_max_f32_e32 v44, v2, v44                                 // 000000004BE4: 16585902
	v_mov_b32_e32 v2, v44                                      // 000000004BE8: 7E04032C
	s_nop 1                                                    // 000000004BEC: BF800001
	v_permlane16_swap_b32_e32 v2, v44                          // 000000004BF0: 7E04B32C
	v_max_f32_e32 v44, v2, v44                                 // 000000004BF4: 16585902
	v_mov_b32_e32 v2, 0x3e800000                               // 000000004BF8: 7E0402FF 3E800000
	v_mul_f32_e32 v43, v2, v43                                 // 000000004C00: 0A565702
	v_mul_f32_e32 v44, v2, v44                                 // 000000004C04: 0A585902
	v_mov_b32_e32 v1, 0x7fff0000                               // 000000004C08: 7E0202FF 7FFF0000
	v_mov_b32_e32 v5, 0x7fbfffff                               // 000000004C10: 7E0A02FF 7FBFFFFF
	v_bfe_u32 v2, v43, 22, 1                                   // 000000004C18: D1C80002 02052D2B
	v_and_b32_e32 v3, v43, v5                                  // 000000004C20: 26060B2B
	v_cmp_eq_u32_e64 s[60:61], v3, 0                           // 000000004C24: D0CA003C 00010103
	v_cndmask_b32_e64 v4, 1, 0, s[60:61]                       // 000000004C2C: D1000004 00F10081
	v_and_b32_e32 v4, v4, v2                                   // 000000004C34: 26080504
	v_bfe_u32 v5, v43, 23, 8                                   // 000000004C38: D1C80005 02212F2B
	v_add_u32_e32 v5, v5, v4                                   // 000000004C40: 680A0905
	v_cmp_u_f32_e64 s[60:61], v43, v43                         // 000000004C44: D048003C 0002572B
	v_lshlrev_b32_e32 v43, 23, v5                              // 000000004C4C: 24560A97
	v_cndmask_b32_e64 v43, v43, v1, s[60:61]                   // 000000004C50: D100002B 00F2032B
	v_mov_b32_e32 v5, 0x7fbfffff                               // 000000004C58: 7E0A02FF 7FBFFFFF
	v_bfe_u32 v2, v44, 22, 1                                   // 000000004C60: D1C80002 02052D2C
	v_and_b32_e32 v3, v44, v5                                  // 000000004C68: 26060B2C
	v_cmp_eq_u32_e64 s[60:61], v3, 0                           // 000000004C6C: D0CA003C 00010103
	v_cndmask_b32_e64 v4, 1, 0, s[60:61]                       // 000000004C74: D1000004 00F10081
	v_and_b32_e32 v4, v4, v2                                   // 000000004C7C: 26080504
	v_bfe_u32 v5, v44, 23, 8                                   // 000000004C80: D1C80005 02212F2C
	v_add_u32_e32 v5, v5, v4                                   // 000000004C88: 680A0905
	v_cmp_u_f32_e64 s[60:61], v44, v44                         // 000000004C8C: D048003C 0002592C
	v_lshlrev_b32_e32 v44, 23, v5                              // 000000004C94: 24580A97
	v_cndmask_b32_e64 v44, v44, v1, s[60:61]                   // 000000004C98: D100002C 00F2032C
	s_mov_b32 s60, 0xffff                                      // 000000004CA0: BEBC00FF 0000FFFF
	v_cvt_scalef32_pk_fp4_f32 v64, v64, v65, v43               // 000000004CA8: D23D0040 04AE8340
	v_cvt_scalef32_pk_fp4_f32 v64, v66, v67, v43 op_sel:[0,0,1,0]// 000000004CB0: D23D2040 04AE8742
	v_cvt_scalef32_pk_fp4_f32 v68, v68, v69, v43               // 000000004CB8: D23D0044 04AE8B44
	v_cvt_scalef32_pk_fp4_f32 v68, v70, v71, v43 op_sel:[0,0,1,0]// 000000004CC0: D23D2044 04AE8F46
	s_nop 1                                                    // 000000004CC8: BF800001
	v_permlane16_swap_b32_e32 v64, v68                         // 000000004CCC: 7E80B344
	s_nop 1                                                    // 000000004CD0: BF800001
	v_and_b32_e64 v64, v64, s60                                // 000000004CD4: D1130040 00007940
	v_lshlrev_b32_e32 v68, 16, v68                             // 000000004CDC: 24888890
	v_or_b32_e32 v64, v64, v68                                 // 000000004CE0: 28808940
	v_mov_b32_e32 v68, v64                                     // 000000004CE4: 7E880340
	s_nop 1                                                    // 000000004CE8: BF800001
	v_permlane32_swap_b32_e32 v64, v68                         // 000000004CEC: 7E80B544
	s_nop 1                                                    // 000000004CF0: BF800001
	v_permlane16_swap_b32_e32 v64, v68                         // 000000004CF4: 7E80B344
	s_nop 1                                                    // 000000004CF8: BF800001
	v_permlane32_swap_b32_e32 v64, v68                         // 000000004CFC: 7E80B544
	s_nop 1                                                    // 000000004D00: BF800001
	v_cvt_scalef32_pk_fp4_f32 v96, v96, v97, v44               // 000000004D04: D23D0060 04B2C360
	v_cvt_scalef32_pk_fp4_f32 v96, v98, v99, v44 op_sel:[0,0,1,0]// 000000004D0C: D23D2060 04B2C762
	v_cvt_scalef32_pk_fp4_f32 v100, v100, v101, v44            // 000000004D14: D23D0064 04B2CB64
	v_cvt_scalef32_pk_fp4_f32 v100, v102, v103, v44 op_sel:[0,0,1,0]// 000000004D1C: D23D2064 04B2CF66
	s_nop 1                                                    // 000000004D24: BF800001
	v_permlane16_swap_b32_e32 v96, v100                        // 000000004D28: 7EC0B364
	s_nop 1                                                    // 000000004D2C: BF800001
	v_and_b32_e64 v96, v96, s60                                // 000000004D30: D1130060 00007960
	v_lshlrev_b32_e32 v100, 16, v100                           // 000000004D38: 24C8C890
	v_or_b32_e32 v96, v96, v100                                // 000000004D3C: 28C0C960
	v_mov_b32_e32 v100, v96                                    // 000000004D40: 7EC80360
	s_nop 1                                                    // 000000004D44: BF800001
	v_permlane32_swap_b32_e32 v96, v100                        // 000000004D48: 7EC0B564
	s_nop 1                                                    // 000000004D4C: BF800001
	v_permlane16_swap_b32_e32 v96, v100                        // 000000004D50: 7EC0B364
	s_nop 1                                                    // 000000004D54: BF800001
	v_permlane32_swap_b32_e32 v96, v100                        // 000000004D58: 7EC0B564
	s_nop 1                                                    // 000000004D5C: BF800001
	v_mov_b32_e32 v45, 0x358637bd                              // 000000004D60: 7E5A02FF 358637BD
	v_mov_b32_e32 v46, 0x358637bd                              // 000000004D68: 7E5C02FF 358637BD
	v_max3_f32 v45, |v72|, |v73|, v45                          // 000000004D70: D1D3032D 04B69348
	v_max3_f32 v45, |v74|, |v75|, v45                          // 000000004D78: D1D3032D 04B6974A
	v_max3_f32 v45, |v76|, |v77|, v45                          // 000000004D80: D1D3032D 04B69B4C
	v_max3_f32 v45, |v78|, |v79|, v45                          // 000000004D88: D1D3032D 04B69F4E
	v_max3_f32 v46, |v104|, |v105|, v46                        // 000000004D90: D1D3032E 04BAD368
	v_max3_f32 v46, |v106|, |v107|, v46                        // 000000004D98: D1D3032E 04BAD76A
	v_max3_f32 v46, |v108|, |v109|, v46                        // 000000004DA0: D1D3032E 04BADB6C
	v_max3_f32 v46, |v110|, |v111|, v46                        // 000000004DA8: D1D3032E 04BADF6E
	v_mov_b32_e32 v2, v45                                      // 000000004DB0: 7E04032D
	s_nop 1                                                    // 000000004DB4: BF800001
	v_permlane32_swap_b32_e32 v2, v45                          // 000000004DB8: 7E04B52D
	v_max_f32_e32 v45, v2, v45                                 // 000000004DBC: 165A5B02
	v_mov_b32_e32 v2, v45                                      // 000000004DC0: 7E04032D
	s_nop 1                                                    // 000000004DC4: BF800001
	v_permlane16_swap_b32_e32 v2, v45                          // 000000004DC8: 7E04B32D
	v_max_f32_e32 v45, v2, v45                                 // 000000004DCC: 165A5B02
	v_mov_b32_e32 v2, v46                                      // 000000004DD0: 7E04032E
	s_nop 1                                                    // 000000004DD4: BF800001
	v_permlane32_swap_b32_e32 v2, v46                          // 000000004DD8: 7E04B52E
	v_max_f32_e32 v46, v2, v46                                 // 000000004DDC: 165C5D02
	v_mov_b32_e32 v2, v46                                      // 000000004DE0: 7E04032E
	s_nop 1                                                    // 000000004DE4: BF800001
	v_permlane16_swap_b32_e32 v2, v46                          // 000000004DE8: 7E04B32E
	v_max_f32_e32 v46, v2, v46                                 // 000000004DEC: 165C5D02
	v_mov_b32_e32 v2, 0x3e800000                               // 000000004DF0: 7E0402FF 3E800000
	v_mul_f32_e32 v45, v2, v45                                 // 000000004DF8: 0A5A5B02
	v_mul_f32_e32 v46, v2, v46                                 // 000000004DFC: 0A5C5D02
	v_mov_b32_e32 v1, 0x7fff0000                               // 000000004E00: 7E0202FF 7FFF0000
	v_mov_b32_e32 v5, 0x7fbfffff                               // 000000004E08: 7E0A02FF 7FBFFFFF
	v_bfe_u32 v2, v45, 22, 1                                   // 000000004E10: D1C80002 02052D2D
	v_and_b32_e32 v3, v45, v5                                  // 000000004E18: 26060B2D
	v_cmp_eq_u32_e64 s[60:61], v3, 0                           // 000000004E1C: D0CA003C 00010103
	v_cndmask_b32_e64 v4, 1, 0, s[60:61]                       // 000000004E24: D1000004 00F10081
	v_and_b32_e32 v4, v4, v2                                   // 000000004E2C: 26080504
	v_bfe_u32 v5, v45, 23, 8                                   // 000000004E30: D1C80005 02212F2D
	v_add_u32_e32 v5, v5, v4                                   // 000000004E38: 680A0905
	v_cmp_u_f32_e64 s[60:61], v45, v45                         // 000000004E3C: D048003C 00025B2D
	v_lshlrev_b32_e32 v45, 23, v5                              // 000000004E44: 245A0A97
	v_cndmask_b32_e64 v45, v45, v1, s[60:61]                   // 000000004E48: D100002D 00F2032D
	v_mov_b32_e32 v5, 0x7fbfffff                               // 000000004E50: 7E0A02FF 7FBFFFFF
	v_bfe_u32 v2, v46, 22, 1                                   // 000000004E58: D1C80002 02052D2E
	v_and_b32_e32 v3, v46, v5                                  // 000000004E60: 26060B2E
	v_cmp_eq_u32_e64 s[60:61], v3, 0                           // 000000004E64: D0CA003C 00010103
	v_cndmask_b32_e64 v4, 1, 0, s[60:61]                       // 000000004E6C: D1000004 00F10081
	v_and_b32_e32 v4, v4, v2                                   // 000000004E74: 26080504
	v_bfe_u32 v5, v46, 23, 8                                   // 000000004E78: D1C80005 02212F2E
	v_add_u32_e32 v5, v5, v4                                   // 000000004E80: 680A0905
	v_cmp_u_f32_e64 s[60:61], v46, v46                         // 000000004E84: D048003C 00025D2E
	v_lshlrev_b32_e32 v46, 23, v5                              // 000000004E8C: 245C0A97
	v_cndmask_b32_e64 v46, v46, v1, s[60:61]                   // 000000004E90: D100002E 00F2032E
	s_mov_b32 s60, 0xffff                                      // 000000004E98: BEBC00FF 0000FFFF
	v_cvt_scalef32_pk_fp4_f32 v72, v72, v73, v45               // 000000004EA0: D23D0048 04B69348
	v_cvt_scalef32_pk_fp4_f32 v72, v74, v75, v45 op_sel:[0,0,1,0]// 000000004EA8: D23D2048 04B6974A
	v_cvt_scalef32_pk_fp4_f32 v76, v76, v77, v45               // 000000004EB0: D23D004C 04B69B4C
	v_cvt_scalef32_pk_fp4_f32 v76, v78, v79, v45 op_sel:[0,0,1,0]// 000000004EB8: D23D204C 04B69F4E
	s_nop 1                                                    // 000000004EC0: BF800001
	v_permlane16_swap_b32_e32 v72, v76                         // 000000004EC4: 7E90B34C
	s_nop 1                                                    // 000000004EC8: BF800001
	v_and_b32_e64 v72, v72, s60                                // 000000004ECC: D1130048 00007948
	v_lshlrev_b32_e32 v76, 16, v76                             // 000000004ED4: 24989890
	v_or_b32_e32 v72, v72, v76                                 // 000000004ED8: 28909948
	v_mov_b32_e32 v76, v72                                     // 000000004EDC: 7E980348
	s_nop 1                                                    // 000000004EE0: BF800001
	v_permlane32_swap_b32_e32 v72, v76                         // 000000004EE4: 7E90B54C
	s_nop 1                                                    // 000000004EE8: BF800001
	v_permlane16_swap_b32_e32 v72, v76                         // 000000004EEC: 7E90B34C
	s_nop 1                                                    // 000000004EF0: BF800001
	v_permlane32_swap_b32_e32 v72, v76                         // 000000004EF4: 7E90B54C
	s_nop 1                                                    // 000000004EF8: BF800001
	v_cvt_scalef32_pk_fp4_f32 v104, v104, v105, v46            // 000000004EFC: D23D0068 04BAD368
	v_cvt_scalef32_pk_fp4_f32 v104, v106, v107, v46 op_sel:[0,0,1,0]// 000000004F04: D23D2068 04BAD76A
	v_cvt_scalef32_pk_fp4_f32 v108, v108, v109, v46            // 000000004F0C: D23D006C 04BADB6C
	v_cvt_scalef32_pk_fp4_f32 v108, v110, v111, v46 op_sel:[0,0,1,0]// 000000004F14: D23D206C 04BADF6E
	s_nop 1                                                    // 000000004F1C: BF800001
	v_permlane16_swap_b32_e32 v104, v108                       // 000000004F20: 7ED0B36C
	s_nop 1                                                    // 000000004F24: BF800001
	v_and_b32_e64 v104, v104, s60                              // 000000004F28: D1130068 00007968
	v_lshlrev_b32_e32 v108, 16, v108                           // 000000004F30: 24D8D890
	v_or_b32_e32 v104, v104, v108                              // 000000004F34: 28D0D968
	v_mov_b32_e32 v108, v104                                   // 000000004F38: 7ED80368
	s_nop 1                                                    // 000000004F3C: BF800001
	v_permlane32_swap_b32_e32 v104, v108                       // 000000004F40: 7ED0B56C
	s_nop 1                                                    // 000000004F44: BF800001
	v_permlane16_swap_b32_e32 v104, v108                       // 000000004F48: 7ED0B36C
	s_nop 1                                                    // 000000004F4C: BF800001
	v_permlane32_swap_b32_e32 v104, v108                       // 000000004F50: 7ED0B56C
	s_nop 1                                                    // 000000004F54: BF800001
	v_mov_b32_e32 v47, 0x358637bd                              // 000000004F58: 7E5E02FF 358637BD
	v_mov_b32_e32 v48, 0x358637bd                              // 000000004F60: 7E6002FF 358637BD
	v_max3_f32 v47, |v80|, |v81|, v47                          // 000000004F68: D1D3032F 04BEA350
	v_max3_f32 v47, |v82|, |v83|, v47                          // 000000004F70: D1D3032F 04BEA752
	v_max3_f32 v47, |v84|, |v85|, v47                          // 000000004F78: D1D3032F 04BEAB54
	v_max3_f32 v47, |v86|, |v87|, v47                          // 000000004F80: D1D3032F 04BEAF56
	v_max3_f32 v48, |v112|, |v113|, v48                        // 000000004F88: D1D30330 04C2E370
	v_max3_f32 v48, |v114|, |v115|, v48                        // 000000004F90: D1D30330 04C2E772
	v_max3_f32 v48, |v116|, |v117|, v48                        // 000000004F98: D1D30330 04C2EB74
	v_max3_f32 v48, |v118|, |v119|, v48                        // 000000004FA0: D1D30330 04C2EF76
	v_mov_b32_e32 v2, v47                                      // 000000004FA8: 7E04032F
	s_nop 1                                                    // 000000004FAC: BF800001
	v_permlane32_swap_b32_e32 v2, v47                          // 000000004FB0: 7E04B52F
	v_max_f32_e32 v47, v2, v47                                 // 000000004FB4: 165E5F02
	v_mov_b32_e32 v2, v47                                      // 000000004FB8: 7E04032F
	s_nop 1                                                    // 000000004FBC: BF800001
	v_permlane16_swap_b32_e32 v2, v47                          // 000000004FC0: 7E04B32F
	v_max_f32_e32 v47, v2, v47                                 // 000000004FC4: 165E5F02
	v_mov_b32_e32 v2, v48                                      // 000000004FC8: 7E040330
	s_nop 1                                                    // 000000004FCC: BF800001
	v_permlane32_swap_b32_e32 v2, v48                          // 000000004FD0: 7E04B530
	v_max_f32_e32 v48, v2, v48                                 // 000000004FD4: 16606102
	v_mov_b32_e32 v2, v48                                      // 000000004FD8: 7E040330
	s_nop 1                                                    // 000000004FDC: BF800001
	v_permlane16_swap_b32_e32 v2, v48                          // 000000004FE0: 7E04B330
	v_max_f32_e32 v48, v2, v48                                 // 000000004FE4: 16606102
	v_mov_b32_e32 v2, 0x3e800000                               // 000000004FE8: 7E0402FF 3E800000
	v_mul_f32_e32 v47, v2, v47                                 // 000000004FF0: 0A5E5F02
	v_mul_f32_e32 v48, v2, v48                                 // 000000004FF4: 0A606102
	v_mov_b32_e32 v1, 0x7fff0000                               // 000000004FF8: 7E0202FF 7FFF0000
	v_mov_b32_e32 v5, 0x7fbfffff                               // 000000005000: 7E0A02FF 7FBFFFFF
	v_bfe_u32 v2, v47, 22, 1                                   // 000000005008: D1C80002 02052D2F
	v_and_b32_e32 v3, v47, v5                                  // 000000005010: 26060B2F
	v_cmp_eq_u32_e64 s[60:61], v3, 0                           // 000000005014: D0CA003C 00010103
	v_cndmask_b32_e64 v4, 1, 0, s[60:61]                       // 00000000501C: D1000004 00F10081
	v_and_b32_e32 v4, v4, v2                                   // 000000005024: 26080504
	v_bfe_u32 v5, v47, 23, 8                                   // 000000005028: D1C80005 02212F2F
	v_add_u32_e32 v5, v5, v4                                   // 000000005030: 680A0905
	v_cmp_u_f32_e64 s[60:61], v47, v47                         // 000000005034: D048003C 00025F2F
	v_lshlrev_b32_e32 v47, 23, v5                              // 00000000503C: 245E0A97
	v_cndmask_b32_e64 v47, v47, v1, s[60:61]                   // 000000005040: D100002F 00F2032F
	v_mov_b32_e32 v5, 0x7fbfffff                               // 000000005048: 7E0A02FF 7FBFFFFF
	v_bfe_u32 v2, v48, 22, 1                                   // 000000005050: D1C80002 02052D30
	v_and_b32_e32 v3, v48, v5                                  // 000000005058: 26060B30
	v_cmp_eq_u32_e64 s[60:61], v3, 0                           // 00000000505C: D0CA003C 00010103
	v_cndmask_b32_e64 v4, 1, 0, s[60:61]                       // 000000005064: D1000004 00F10081
	v_and_b32_e32 v4, v4, v2                                   // 00000000506C: 26080504
	v_bfe_u32 v5, v48, 23, 8                                   // 000000005070: D1C80005 02212F30
	v_add_u32_e32 v5, v5, v4                                   // 000000005078: 680A0905
	v_cmp_u_f32_e64 s[60:61], v48, v48                         // 00000000507C: D048003C 00026130
	v_lshlrev_b32_e32 v48, 23, v5                              // 000000005084: 24600A97
	v_cndmask_b32_e64 v48, v48, v1, s[60:61]                   // 000000005088: D1000030 00F20330
	s_mov_b32 s60, 0xffff                                      // 000000005090: BEBC00FF 0000FFFF
	v_cvt_scalef32_pk_fp4_f32 v80, v80, v81, v47               // 000000005098: D23D0050 04BEA350
	v_cvt_scalef32_pk_fp4_f32 v80, v82, v83, v47 op_sel:[0,0,1,0]// 0000000050A0: D23D2050 04BEA752
	v_cvt_scalef32_pk_fp4_f32 v84, v84, v85, v47               // 0000000050A8: D23D0054 04BEAB54
	v_cvt_scalef32_pk_fp4_f32 v84, v86, v87, v47 op_sel:[0,0,1,0]// 0000000050B0: D23D2054 04BEAF56
	s_nop 1                                                    // 0000000050B8: BF800001
	v_permlane16_swap_b32_e32 v80, v84                         // 0000000050BC: 7EA0B354
	s_nop 1                                                    // 0000000050C0: BF800001
	v_and_b32_e64 v80, v80, s60                                // 0000000050C4: D1130050 00007950
	v_lshlrev_b32_e32 v84, 16, v84                             // 0000000050CC: 24A8A890
	v_or_b32_e32 v80, v80, v84                                 // 0000000050D0: 28A0A950
	v_mov_b32_e32 v84, v80                                     // 0000000050D4: 7EA80350
	s_nop 1                                                    // 0000000050D8: BF800001
	v_permlane32_swap_b32_e32 v80, v84                         // 0000000050DC: 7EA0B554
	s_nop 1                                                    // 0000000050E0: BF800001
	v_permlane16_swap_b32_e32 v80, v84                         // 0000000050E4: 7EA0B354
	s_nop 1                                                    // 0000000050E8: BF800001
	v_permlane32_swap_b32_e32 v80, v84                         // 0000000050EC: 7EA0B554
	s_nop 1                                                    // 0000000050F0: BF800001
	v_cvt_scalef32_pk_fp4_f32 v112, v112, v113, v48            // 0000000050F4: D23D0070 04C2E370
	v_cvt_scalef32_pk_fp4_f32 v112, v114, v115, v48 op_sel:[0,0,1,0]// 0000000050FC: D23D2070 04C2E772
	v_cvt_scalef32_pk_fp4_f32 v116, v116, v117, v48            // 000000005104: D23D0074 04C2EB74
	v_cvt_scalef32_pk_fp4_f32 v116, v118, v119, v48 op_sel:[0,0,1,0]// 00000000510C: D23D2074 04C2EF76
	s_nop 1                                                    // 000000005114: BF800001
	v_permlane16_swap_b32_e32 v112, v116                       // 000000005118: 7EE0B374
	s_nop 1                                                    // 00000000511C: BF800001
	v_and_b32_e64 v112, v112, s60                              // 000000005120: D1130070 00007970
	v_lshlrev_b32_e32 v116, 16, v116                           // 000000005128: 24E8E890
	v_or_b32_e32 v112, v112, v116                              // 00000000512C: 28E0E970
	v_mov_b32_e32 v116, v112                                   // 000000005130: 7EE80370
	s_nop 1                                                    // 000000005134: BF800001
	v_permlane32_swap_b32_e32 v112, v116                       // 000000005138: 7EE0B574
	s_nop 1                                                    // 00000000513C: BF800001
	v_permlane16_swap_b32_e32 v112, v116                       // 000000005140: 7EE0B374
	s_nop 1                                                    // 000000005144: BF800001
	v_permlane32_swap_b32_e32 v112, v116                       // 000000005148: 7EE0B574
	s_nop 1                                                    // 00000000514C: BF800001
	v_mov_b32_e32 v49, 0x358637bd                              // 000000005150: 7E6202FF 358637BD
	v_mov_b32_e32 v50, 0x358637bd                              // 000000005158: 7E6402FF 358637BD
	v_max3_f32 v49, |v88|, |v89|, v49                          // 000000005160: D1D30331 04C6B358
	v_max3_f32 v49, |v90|, |v91|, v49                          // 000000005168: D1D30331 04C6B75A
	v_max3_f32 v49, |v92|, |v93|, v49                          // 000000005170: D1D30331 04C6BB5C
	v_max3_f32 v49, |v94|, |v95|, v49                          // 000000005178: D1D30331 04C6BF5E
	v_max3_f32 v50, |v120|, |v121|, v50                        // 000000005180: D1D30332 04CAF378
	v_max3_f32 v50, |v122|, |v123|, v50                        // 000000005188: D1D30332 04CAF77A
	v_max3_f32 v50, |v124|, |v125|, v50                        // 000000005190: D1D30332 04CAFB7C
	v_max3_f32 v50, |v126|, |v127|, v50                        // 000000005198: D1D30332 04CAFF7E
	v_mov_b32_e32 v2, v49                                      // 0000000051A0: 7E040331
	s_nop 1                                                    // 0000000051A4: BF800001
	v_permlane32_swap_b32_e32 v2, v49                          // 0000000051A8: 7E04B531
	v_max_f32_e32 v49, v2, v49                                 // 0000000051AC: 16626302
	v_mov_b32_e32 v2, v49                                      // 0000000051B0: 7E040331
	s_nop 1                                                    // 0000000051B4: BF800001
	v_permlane16_swap_b32_e32 v2, v49                          // 0000000051B8: 7E04B331
	v_max_f32_e32 v49, v2, v49                                 // 0000000051BC: 16626302
	v_mov_b32_e32 v2, v50                                      // 0000000051C0: 7E040332
	s_nop 1                                                    // 0000000051C4: BF800001
	v_permlane32_swap_b32_e32 v2, v50                          // 0000000051C8: 7E04B532
	v_max_f32_e32 v50, v2, v50                                 // 0000000051CC: 16646502
	v_mov_b32_e32 v2, v50                                      // 0000000051D0: 7E040332
	s_nop 1                                                    // 0000000051D4: BF800001
	v_permlane16_swap_b32_e32 v2, v50                          // 0000000051D8: 7E04B332
	v_max_f32_e32 v50, v2, v50                                 // 0000000051DC: 16646502
	v_mov_b32_e32 v2, 0x3e800000                               // 0000000051E0: 7E0402FF 3E800000
	v_mul_f32_e32 v49, v2, v49                                 // 0000000051E8: 0A626302
	v_mul_f32_e32 v50, v2, v50                                 // 0000000051EC: 0A646502
	v_mov_b32_e32 v1, 0x7fff0000                               // 0000000051F0: 7E0202FF 7FFF0000
	v_mov_b32_e32 v5, 0x7fbfffff                               // 0000000051F8: 7E0A02FF 7FBFFFFF
	v_bfe_u32 v2, v49, 22, 1                                   // 000000005200: D1C80002 02052D31
	v_and_b32_e32 v3, v49, v5                                  // 000000005208: 26060B31
	v_cmp_eq_u32_e64 s[60:61], v3, 0                           // 00000000520C: D0CA003C 00010103
	v_cndmask_b32_e64 v4, 1, 0, s[60:61]                       // 000000005214: D1000004 00F10081
	v_and_b32_e32 v4, v4, v2                                   // 00000000521C: 26080504
	v_bfe_u32 v5, v49, 23, 8                                   // 000000005220: D1C80005 02212F31
	v_add_u32_e32 v5, v5, v4                                   // 000000005228: 680A0905
	v_cmp_u_f32_e64 s[60:61], v49, v49                         // 00000000522C: D048003C 00026331
	v_lshlrev_b32_e32 v49, 23, v5                              // 000000005234: 24620A97
	v_cndmask_b32_e64 v49, v49, v1, s[60:61]                   // 000000005238: D1000031 00F20331
	v_mov_b32_e32 v5, 0x7fbfffff                               // 000000005240: 7E0A02FF 7FBFFFFF
	v_bfe_u32 v2, v50, 22, 1                                   // 000000005248: D1C80002 02052D32
	v_and_b32_e32 v3, v50, v5                                  // 000000005250: 26060B32
	v_cmp_eq_u32_e64 s[60:61], v3, 0                           // 000000005254: D0CA003C 00010103
	v_cndmask_b32_e64 v4, 1, 0, s[60:61]                       // 00000000525C: D1000004 00F10081
	v_and_b32_e32 v4, v4, v2                                   // 000000005264: 26080504
	v_bfe_u32 v5, v50, 23, 8                                   // 000000005268: D1C80005 02212F32
	v_add_u32_e32 v5, v5, v4                                   // 000000005270: 680A0905
	v_cmp_u_f32_e64 s[60:61], v50, v50                         // 000000005274: D048003C 00026532
	v_lshlrev_b32_e32 v50, 23, v5                              // 00000000527C: 24640A97
	v_cndmask_b32_e64 v50, v50, v1, s[60:61]                   // 000000005280: D1000032 00F20332
	s_mov_b32 s60, 0xffff                                      // 000000005288: BEBC00FF 0000FFFF
	v_cvt_scalef32_pk_fp4_f32 v88, v88, v89, v49               // 000000005290: D23D0058 04C6B358
	v_cvt_scalef32_pk_fp4_f32 v88, v90, v91, v49 op_sel:[0,0,1,0]// 000000005298: D23D2058 04C6B75A
	v_cvt_scalef32_pk_fp4_f32 v92, v92, v93, v49               // 0000000052A0: D23D005C 04C6BB5C
	v_cvt_scalef32_pk_fp4_f32 v92, v94, v95, v49 op_sel:[0,0,1,0]// 0000000052A8: D23D205C 04C6BF5E
	s_nop 1                                                    // 0000000052B0: BF800001
	v_permlane16_swap_b32_e32 v88, v92                         // 0000000052B4: 7EB0B35C
	s_nop 1                                                    // 0000000052B8: BF800001
	v_and_b32_e64 v88, v88, s60                                // 0000000052BC: D1130058 00007958
	v_lshlrev_b32_e32 v92, 16, v92                             // 0000000052C4: 24B8B890
	v_or_b32_e32 v88, v88, v92                                 // 0000000052C8: 28B0B958
	v_mov_b32_e32 v92, v88                                     // 0000000052CC: 7EB80358
	s_nop 1                                                    // 0000000052D0: BF800001
	v_permlane32_swap_b32_e32 v88, v92                         // 0000000052D4: 7EB0B55C
	s_nop 1                                                    // 0000000052D8: BF800001
	v_permlane16_swap_b32_e32 v88, v92                         // 0000000052DC: 7EB0B35C
	s_nop 1                                                    // 0000000052E0: BF800001
	v_permlane32_swap_b32_e32 v88, v92                         // 0000000052E4: 7EB0B55C
	s_nop 1                                                    // 0000000052E8: BF800001
	v_cvt_scalef32_pk_fp4_f32 v120, v120, v121, v50            // 0000000052EC: D23D0078 04CAF378
	v_cvt_scalef32_pk_fp4_f32 v120, v122, v123, v50 op_sel:[0,0,1,0]// 0000000052F4: D23D2078 04CAF77A
	v_cvt_scalef32_pk_fp4_f32 v124, v124, v125, v50            // 0000000052FC: D23D007C 04CAFB7C
	v_cvt_scalef32_pk_fp4_f32 v124, v126, v127, v50 op_sel:[0,0,1,0]// 000000005304: D23D207C 04CAFF7E
	s_nop 1                                                    // 00000000530C: BF800001
	v_permlane16_swap_b32_e32 v120, v124                       // 000000005310: 7EF0B37C
	s_nop 1                                                    // 000000005314: BF800001
	v_and_b32_e64 v120, v120, s60                              // 000000005318: D1130078 00007978
	v_lshlrev_b32_e32 v124, 16, v124                           // 000000005320: 24F8F890
	v_or_b32_e32 v120, v120, v124                              // 000000005324: 28F0F978
	v_mov_b32_e32 v124, v120                                   // 000000005328: 7EF80378
	s_nop 1                                                    // 00000000532C: BF800001
	v_permlane32_swap_b32_e32 v120, v124                       // 000000005330: 7EF0B57C
	s_nop 1                                                    // 000000005334: BF800001
	v_permlane16_swap_b32_e32 v120, v124                       // 000000005338: 7EF0B37C
	s_nop 1                                                    // 00000000533C: BF800001
	v_permlane32_swap_b32_e32 v120, v124                       // 000000005340: 7EF0B57C
	s_nop 1                                                    // 000000005344: BF800001
	v_lshrrev_b32_e32 v2, 5, v0                                // 000000005348: 20040085
	v_lshlrev_b32_e32 v3, 6, v2                                // 00000000534C: 24060486
	v_and_b32_e32 v2, 31, v0                                   // 000000005350: 2604009F
	v_lshrrev_b32_e32 v4, 4, v2                                // 000000005354: 20080484
	v_add_u32_e32 v3, v4, v3                                   // 000000005358: 68060704
	v_and_b32_e32 v2, 15, v0                                   // 00000000535C: 2604008F
	v_lshlrev_b32_e32 v2, 1, v2                                // 000000005360: 24040481
	v_add_u32_e32 v3, v2, v3                                   // 000000005364: 68060702
	v_lshlrev_b32_e32 v2, 2, v3                                // 000000005368: 24040682
	s_mov_b32 s60, 0                                           // 00000000536C: BEBC0080
	s_lshr_b32 s61, s7, 1                                      // 000000005370: 8F3D8107
	s_mul_i32 s61, s61, 0x200                                  // 000000005374: 923DFF3D 00000200
	s_add_u32 s60, s61, s60                                    // 00000000537C: 803C3C3D
	s_and_b32 s61, s7, 1                                       // 000000005380: 863D8107
	s_mul_i32 s61, s61, 0x80                                   // 000000005384: 923DFF3D 00000080
	s_add_u32 s60, s61, s60                                    // 00000000538C: 803C3C3D
	v_add_u32_e64 v2, v2, s60                                  // 000000005390: D1340002 00007902
	ds_write_b32 v2, v64                                       // 000000005398: D81A0000 00004002
	ds_write_b32 v2, v72 offset:1024                           // 0000000053A0: D81A0400 00004802
	ds_write_b32 v2, v80 offset:2048                           // 0000000053A8: D81A0800 00005002
	ds_write_b32 v2, v88 offset:3072                           // 0000000053B0: D81A0C00 00005802
	ds_write_b32 v2, v96 offset:4096                           // 0000000053B8: D81A1000 00006002
	ds_write_b32 v2, v104 offset:5120                          // 0000000053C0: D81A1400 00006802
	ds_write_b32 v2, v112 offset:6144                          // 0000000053C8: D81A1800 00007002
	ds_write_b32 v2, v120 offset:7168                          // 0000000053D0: D81A1C00 00007802
	s_waitcnt lgkmcnt(0)                                       // 0000000053D8: BF8CC07F
	s_barrier                                                  // 0000000053DC: BF8A0000
	v_and_b32_e32 v2, 31, v0                                   // 0000000053E0: 2604009F
	v_lshrrev_b32_e32 v2, 4, v2                                // 0000000053E4: 20040484
	v_lshlrev_b32_e32 v3, 5, v2                                // 0000000053E8: 24060485
	v_lshrrev_b32_e32 v2, 5, v0                                // 0000000053EC: 20040085
	v_lshlrev_b32_e32 v2, 7, v2                                // 0000000053F0: 24040487
	v_add_u32_e32 v3, v2, v3                                   // 0000000053F4: 68060702
	v_and_b32_e32 v2, 15, v0                                   // 0000000053F8: 2604008F
	v_lshlrev_b32_e32 v2, 1, v2                                // 0000000053FC: 24040481
	v_add_u32_e32 v3, v2, v3                                   // 000000005400: 68060702
	v_lshlrev_b32_e32 v2, 2, v3                                // 000000005404: 24040682
	ds_read_b64 v[64:65], v2                                   // 000000005408: D8EC0000 40000002
	ds_read_b64 v[66:67], v2 offset:256                        // 000000005410: D8EC0100 42000002
	ds_read_b64 v[68:69], v2 offset:1024                       // 000000005418: D8EC0400 44000002
	ds_read_b64 v[70:71], v2 offset:1280                       // 000000005420: D8EC0500 46000002
	ds_read_b64 v[72:73], v2 offset:2048                       // 000000005428: D8EC0800 48000002
	ds_read_b64 v[74:75], v2 offset:2304                       // 000000005430: D8EC0900 4A000002
	ds_read_b64 v[76:77], v2 offset:3072                       // 000000005438: D8EC0C00 4C000002
	ds_read_b64 v[78:79], v2 offset:3328                       // 000000005440: D8EC0D00 4E000002
	ds_read_b64 v[80:81], v2 offset:4096                       // 000000005448: D8EC1000 50000002
	ds_read_b64 v[82:83], v2 offset:4352                       // 000000005450: D8EC1100 52000002
	ds_read_b64 v[84:85], v2 offset:5120                       // 000000005458: D8EC1400 54000002
	ds_read_b64 v[86:87], v2 offset:5376                       // 000000005460: D8EC1500 56000002
	ds_read_b64 v[88:89], v2 offset:6144                       // 000000005468: D8EC1800 58000002
	ds_read_b64 v[90:91], v2 offset:6400                       // 000000005470: D8EC1900 5A000002
	ds_read_b64 v[92:93], v2 offset:7168                       // 000000005478: D8EC1C00 5C000002
	ds_read_b64 v[94:95], v2 offset:7424                       // 000000005480: D8EC1D00 5E000002
	s_waitcnt lgkmcnt(0)                                       // 000000005488: BF8CC07F
	s_barrier                                                  // 00000000548C: BF8A0000
	v_lshrrev_b32_e32 v2, 5, v0                                // 000000005490: 20040085
	v_lshlrev_b32_e32 v3, 6, v2                                // 000000005494: 24060486
	v_and_b32_e32 v2, 31, v0                                   // 000000005498: 2604009F
	v_lshrrev_b32_e32 v4, 4, v2                                // 00000000549C: 20080484
	v_add_u32_e32 v3, v4, v3                                   // 0000000054A0: 68060704
	v_and_b32_e32 v2, 15, v0                                   // 0000000054A4: 2604008F
	v_lshlrev_b32_e32 v2, 1, v2                                // 0000000054A8: 24040481
	v_add_u32_e32 v3, v2, v3                                   // 0000000054AC: 68060702
	v_lshlrev_b32_e32 v2, 2, v3                                // 0000000054B0: 24040682
	s_mov_b32 s60, 0                                           // 0000000054B4: BEBC0080
	s_lshr_b32 s61, s7, 1                                      // 0000000054B8: 8F3D8107
	s_mul_i32 s61, s61, 0x200                                  // 0000000054BC: 923DFF3D 00000200
	s_add_u32 s60, s61, s60                                    // 0000000054C4: 803C3C3D
	s_and_b32 s61, s7, 1                                       // 0000000054C8: 863D8107
	s_mul_i32 s61, s61, 0x80                                   // 0000000054CC: 923DFF3D 00000080
	s_add_u32 s60, s61, s60                                    // 0000000054D4: 803C3C3D
	v_add_u32_e64 v2, v2, s60                                  // 0000000054D8: D1340002 00007902
	ds_write_b32 v2, v43                                       // 0000000054E0: D81A0000 00002B02
	ds_write_b32 v2, v45 offset:1024                           // 0000000054E8: D81A0400 00002D02
	ds_write_b32 v2, v47 offset:2048                           // 0000000054F0: D81A0800 00002F02
	ds_write_b32 v2, v49 offset:3072                           // 0000000054F8: D81A0C00 00003102
	ds_write_b32 v2, v44 offset:4096                           // 000000005500: D81A1000 00002C02
	ds_write_b32 v2, v46 offset:5120                           // 000000005508: D81A1400 00002E02
	ds_write_b32 v2, v48 offset:6144                           // 000000005510: D81A1800 00003002
	ds_write_b32 v2, v50 offset:7168                           // 000000005518: D81A1C00 00003202
	s_waitcnt lgkmcnt(0)                                       // 000000005520: BF8CC07F
	s_barrier                                                  // 000000005524: BF8A0000
	v_and_b32_e32 v2, 31, v0                                   // 000000005528: 2604009F
	v_lshrrev_b32_e32 v2, 4, v2                                // 00000000552C: 20040484
	v_lshlrev_b32_e32 v3, 5, v2                                // 000000005530: 24060485
	v_lshrrev_b32_e32 v2, 5, v0                                // 000000005534: 20040085
	v_lshlrev_b32_e32 v2, 7, v2                                // 000000005538: 24040487
	v_add_u32_e32 v3, v2, v3                                   // 00000000553C: 68060702
	v_and_b32_e32 v2, 15, v0                                   // 000000005540: 2604008F
	v_lshlrev_b32_e32 v2, 1, v2                                // 000000005544: 24040481
	v_add_u32_e32 v3, v2, v3                                   // 000000005548: 68060702
	v_lshlrev_b32_e32 v2, 2, v3                                // 00000000554C: 24040682
	ds_read_b32 v43, v2                                        // 000000005550: D86C0000 2B000002
	ds_read_b32 v45, v2 offset:1024                            // 000000005558: D86C0400 2D000002
	ds_read_b32 v47, v2 offset:2048                            // 000000005560: D86C0800 2F000002
	ds_read_b32 v49, v2 offset:3072                            // 000000005568: D86C0C00 31000002
	ds_read_b32 v44, v2 offset:4096                            // 000000005570: D86C1000 2C000002
	ds_read_b32 v46, v2 offset:5120                            // 000000005578: D86C1400 2E000002
	ds_read_b32 v48, v2 offset:6144                            // 000000005580: D86C1800 30000002
	ds_read_b32 v50, v2 offset:7168                            // 000000005588: D86C1C00 32000002
	s_waitcnt lgkmcnt(0)                                       // 000000005590: BF8CC07F
	s_barrier                                                  // 000000005594: BF8A0000
	v_bfe_u32 v43, v43, 23, 8                                  // 000000005598: D1C8002B 02212F2B
	v_bfe_u32 v44, v44, 23, 8                                  // 0000000055A0: D1C8002C 02212F2C
	v_bfe_u32 v45, v45, 23, 8                                  // 0000000055A8: D1C8002D 02212F2D
	v_bfe_u32 v46, v46, 23, 8                                  // 0000000055B0: D1C8002E 02212F2E
	v_bfe_u32 v47, v47, 23, 8                                  // 0000000055B8: D1C8002F 02212F2F
	v_bfe_u32 v48, v48, 23, 8                                  // 0000000055C0: D1C80030 02212F30
	v_bfe_u32 v49, v49, 23, 8                                  // 0000000055C8: D1C80031 02212F31
	v_bfe_u32 v50, v50, 23, 8                                  // 0000000055D0: D1C80032 02212F32
	v_mov_b32_e32 v2, 0                                        // 0000000055D8: 7E040280
	v_lshlrev_b32_e32 v43, 0, v43                              // 0000000055DC: 24565680
	v_or_b32_e32 v2, v2, v43                                   // 0000000055E0: 28045702
	v_lshlrev_b32_e32 v44, 8, v44                              // 0000000055E4: 24585888
	v_or_b32_e32 v2, v2, v44                                   // 0000000055E8: 28045902
	v_lshlrev_b32_e32 v45, 16, v45                             // 0000000055EC: 245A5A90
	v_or_b32_e32 v2, v2, v45                                   // 0000000055F0: 28045B02
	v_lshlrev_b32_e32 v46, 24, v46                             // 0000000055F4: 245C5C98
	v_or_b32_e32 v2, v2, v46                                   // 0000000055F8: 28045D02
	v_mov_b32_e32 v43, v2                                      // 0000000055FC: 7E560302
	v_mov_b32_e32 v2, 0                                        // 000000005600: 7E040280
	v_lshlrev_b32_e32 v47, 0, v47                              // 000000005604: 245E5E80
	v_or_b32_e32 v2, v2, v47                                   // 000000005608: 28045F02
	v_lshlrev_b32_e32 v48, 8, v48                              // 00000000560C: 24606088
	v_or_b32_e32 v2, v2, v48                                   // 000000005610: 28046102
	v_lshlrev_b32_e32 v49, 16, v49                             // 000000005614: 24626290
	v_or_b32_e32 v2, v2, v49                                   // 000000005618: 28046302
	v_lshlrev_b32_e32 v50, 24, v50                             // 00000000561C: 24646498
	v_or_b32_e32 v2, v2, v50                                   // 000000005620: 28046502
	v_mov_b32_e32 v44, v2                                      // 000000005624: 7E580302
	s_add_u32 s12, s56, s12                                    // 000000005628: 800C0C38
	s_addc_u32 s13, 0, s13                                     // 00000000562C: 820D0D80
	s_add_u32 s16, s79, s16                                    // 000000005630: 8010104F
	s_addc_u32 s17, 0, s17                                     // 000000005634: 82111180
	s_waitcnt lgkmcnt(0)                                       // 000000005638: BF8CC07F
	s_barrier                                                  // 00000000563C: BF8A0000
	v_mov_b32_e32 v160, 0                                      // 000000005640: 7F400280
	v_mov_b32_e32 v192, 0                                      // 000000005644: 7F800280
	v_mov_b32_e32 v161, 0                                      // 000000005648: 7F420280
	v_mov_b32_e32 v193, 0                                      // 00000000564C: 7F820280
	v_mov_b32_e32 v162, 0                                      // 000000005650: 7F440280
	v_mov_b32_e32 v194, 0                                      // 000000005654: 7F840280
	v_mov_b32_e32 v163, 0                                      // 000000005658: 7F460280
	v_mov_b32_e32 v195, 0                                      // 00000000565C: 7F860280
	v_mov_b32_e32 v164, 0                                      // 000000005660: 7F480280
	v_mov_b32_e32 v196, 0                                      // 000000005664: 7F880280
	v_mov_b32_e32 v165, 0                                      // 000000005668: 7F4A0280
	v_mov_b32_e32 v197, 0                                      // 00000000566C: 7F8A0280
	v_mov_b32_e32 v166, 0                                      // 000000005670: 7F4C0280
	v_mov_b32_e32 v198, 0                                      // 000000005674: 7F8C0280
	v_mov_b32_e32 v167, 0                                      // 000000005678: 7F4E0280
	v_mov_b32_e32 v199, 0                                      // 00000000567C: 7F8E0280
	v_mov_b32_e32 v168, 0                                      // 000000005680: 7F500280
	v_mov_b32_e32 v200, 0                                      // 000000005684: 7F900280
	v_mov_b32_e32 v169, 0                                      // 000000005688: 7F520280
	v_mov_b32_e32 v201, 0                                      // 00000000568C: 7F920280
	v_mov_b32_e32 v170, 0                                      // 000000005690: 7F540280
	v_mov_b32_e32 v202, 0                                      // 000000005694: 7F940280
	v_mov_b32_e32 v171, 0                                      // 000000005698: 7F560280
	v_mov_b32_e32 v203, 0                                      // 00000000569C: 7F960280
	v_mov_b32_e32 v172, 0                                      // 0000000056A0: 7F580280
	v_mov_b32_e32 v204, 0                                      // 0000000056A4: 7F980280
	v_mov_b32_e32 v173, 0                                      // 0000000056A8: 7F5A0280
	v_mov_b32_e32 v205, 0                                      // 0000000056AC: 7F9A0280
	v_mov_b32_e32 v174, 0                                      // 0000000056B0: 7F5C0280
	v_mov_b32_e32 v206, 0                                      // 0000000056B4: 7F9C0280
	v_mov_b32_e32 v175, 0                                      // 0000000056B8: 7F5E0280
	v_mov_b32_e32 v207, 0                                      // 0000000056BC: 7F9E0280
	ds_write_b64 v8, v[160:161]                                // 0000000056C0: D89A0000 0000A008
	ds_write_b64 v8, v[162:163] offset:8704                    // 0000000056C8: D89A2200 0000A208
	ds_write_b64 v8, v[164:165] offset:544                     // 0000000056D0: D89A0220 0000A408
	ds_write_b64 v8, v[166:167] offset:9248                    // 0000000056D8: D89A2420 0000A608
	ds_write_b64 v8, v[168:169] offset:4352                    // 0000000056E0: D89A1100 0000A808
	ds_write_b64 v8, v[170:171] offset:13056                   // 0000000056E8: D89A3300 0000AA08
	ds_write_b64 v8, v[172:173] offset:4896                    // 0000000056F0: D89A1320 0000AC08
	ds_write_b64 v8, v[174:175] offset:13600                   // 0000000056F8: D89A3520 0000AE08
	s_mov_b32 s80, 0                                           // 000000005700: BED00080
	s_waitcnt vmcnt(0) expcnt(0) lgkmcnt(0)                    // 000000005704: BF8C0000

0000000000005708 <label_0B02>:
	s_waitcnt vmcnt(14) lgkmcnt(0)                             // 000000005708: BF8C007E
	s_barrier                                                  // 00000000570C: BF8A0000
	v_mfma_scale_f32_16x16x128_f8f6f4 v[160:163], a[0:3], v[64:67], 0, v25, v43 op_sel_hi:[0,0,0] cbsz:4 blgp:4// 000000005710: D3AC6000 00025719 D3AD0CA0 8A028100
	ds_read_b32 v128, v9                                       // 000000005720: D86C0000 80000009
	ds_read_b32 v129, v9 offset:4352                           // 000000005728: D86C1100 81000009
	ds_read_b32 v130, v9 offset:8                              // 000000005730: D86C0008 82000009
	ds_read_b32 v131, v9 offset:4360                           // 000000005738: D86C1108 83000009
	v_mfma_scale_f32_16x16x128_f8f6f4 v[164:167], a[0:3], v[80:83], 0, v25, v43 op_sel_hi:[0,0,0] cbsz:4 blgp:4// 000000005740: D3AC7000 00025719 D3AD0CA4 8A02A100
	buffer_load_dwordx4 a[64:67], v60, s[12:15], 0 offen       // 000000005750: E05C1000 8083403C
	v_mfma_scale_f32_16x16x128_f8f6f4 v[168:171], a[4:7], v[64:67], 0, v25, v43 op_sel_hi:[0,0,0] cbsz:4 blgp:4// 000000005758: D3AC6800 00025719 D3AD0CA8 8A028104
	ds_read_b32 v132, v9 offset:32                             // 000000005768: D86C0020 84000009
	ds_read_b32 v133, v9 offset:4384                           // 000000005770: D86C1120 85000009
	ds_read_b32 v134, v9 offset:40                             // 000000005778: D86C0028 86000009
	ds_read_b32 v135, v9 offset:4392                           // 000000005780: D86C1128 87000009
	v_mfma_scale_f32_16x16x128_f8f6f4 v[172:175], a[4:7], v[80:83], 0, v25, v43 op_sel_hi:[0,0,0] cbsz:4 blgp:4// 000000005788: D3AC7800 00025719 D3AD0CAC 8A02A104
	buffer_load_dwordx4 a[68:71], v61, s[12:15], 0 offen       // 000000005798: E05C1000 8083443D
	buffer_load_dword v29, v10, s[16:19], 0 offen              // 0000000057A0: E0501000 80041D0A
	buffer_load_dword v30, v11, s[16:19], 0 offen              // 0000000057A8: E0501000 80041E0B
	buffer_load_dword v31, v10, s[16:19], 0 offen offset:256   // 0000000057B0: E0501100 80041F0A
	buffer_load_dword v32, v11, s[16:19], 0 offen offset:256   // 0000000057B8: E0501100 8004200B
	s_waitcnt vmcnt(18)                                        // 0000000057C0: BF8C4F72
	v_mfma_scale_f32_16x16x128_f8f6f4 v[176:179], a[8:11], v[64:67], 0, v26, v43 op_sel_hi:[0,0,0] cbsz:4 blgp:4// 0000000057C4: D3AC6000 0002571A D3AD0CB0 8A028108
	ds_read_b32 v136, v9 offset:8704                           // 0000000057D4: D86C2200 88000009
	ds_read_b32 v137, v9 offset:13056                          // 0000000057DC: D86C3300 89000009
	ds_read_b32 v138, v9 offset:8712                           // 0000000057E4: D86C2208 8A000009
	ds_read_b32 v139, v9 offset:13064                          // 0000000057EC: D86C3308 8B000009
	v_mfma_scale_f32_16x16x128_f8f6f4 v[180:183], a[8:11], v[80:83], 0, v26, v43 op_sel_hi:[0,0,0] cbsz:4 blgp:4// 0000000057F4: D3AC7000 0002571A D3AD0CB4 8A02A108
	buffer_load_dwordx4 a[72:75], v62, s[12:15], 0 offen       // 000000005804: E05C1000 8083483E
	v_mfma_scale_f32_16x16x128_f8f6f4 v[184:187], a[12:15], v[64:67], 0, v26, v43 op_sel_hi:[0,0,0] cbsz:4 blgp:4// 00000000580C: D3AC6800 0002571A D3AD0CB8 8A02810C
	ds_read_b32 v140, v9 offset:8736                           // 00000000581C: D86C2220 8C000009
	ds_read_b32 v141, v9 offset:13088                          // 000000005824: D86C3320 8D000009
	ds_read_b32 v142, v9 offset:8744                           // 00000000582C: D86C2228 8E000009
	ds_read_b32 v143, v9 offset:13096                          // 000000005834: D86C3328 8F000009
	v_mfma_scale_f32_16x16x128_f8f6f4 v[188:191], a[12:15], v[80:83], 0, v26, v43 op_sel_hi:[0,0,0] cbsz:4 blgp:4// 00000000583C: D3AC7800 0002571A D3AD0CBC 8A02A10C
	buffer_load_dwordx4 a[76:79], v63, s[12:15], 0 offen       // 00000000584C: E05C1000 80834C3F
	buffer_load_dword v31, v10, s[16:19], 0 offen offset:256   // 000000005854: E0501100 80041F0A
	buffer_load_dword v32, v11, s[16:19], 0 offen offset:256   // 00000000585C: E0501100 8004200B
	s_waitcnt vmcnt(18)                                        // 000000005864: BF8C4F72
	v_mfma_scale_f32_16x16x128_f8f6f4 v[160:163], a[16:19], v[68:71], v[160:163], v25, v43 op_sel_hi:[0,0,0] cbsz:4 blgp:4// 000000005868: D3AC6000 18025719 D3AD0CA0 8E828910
	ds_write_b64 v8, v[192:193] offset:17408                   // 000000005878: D89A4400 0000C008
	ds_write_b64 v8, v[194:195] offset:26112                   // 000000005880: D89A6600 0000C208
	v_mfma_scale_f32_16x16x128_f8f6f4 v[164:167], a[16:19], v[84:87], v[164:167], v25, v43 op_sel_hi:[0,0,0] cbsz:4 blgp:4// 000000005888: D3AC7000 18025719 D3AD0CA4 8E92A910
	buffer_load_dwordx4 a[80:83], v60, s[12:15], 0 offen offset:1024// 000000005898: E05C1400 8083503C
	v_mfma_scale_f32_16x16x128_f8f6f4 v[168:171], a[20:23], v[68:71], v[168:171], v25, v43 op_sel_hi:[0,0,0] cbsz:4 blgp:4// 0000000058A0: D3AC6800 18025719 D3AD0CA8 8EA28914
	ds_write_b64 v8, v[196:197] offset:17952                   // 0000000058B0: D89A4620 0000C408
	ds_write_b64 v8, v[198:199] offset:26656                   // 0000000058B8: D89A6820 0000C608
	v_mfma_scale_f32_16x16x128_f8f6f4 v[172:175], a[20:23], v[84:87], v[172:175], v25, v43 op_sel_hi:[0,0,0] cbsz:4 blgp:4// 0000000058C0: D3AC7800 18025719 D3AD0CAC 8EB2A914
	buffer_load_dwordx4 a[84:87], v61, s[12:15], 0 offen offset:1024// 0000000058D0: E05C1400 8083543D
	s_waitcnt vmcnt(18)                                        // 0000000058D8: BF8C4F72
	v_mfma_scale_f32_16x16x128_f8f6f4 v[176:179], a[24:27], v[68:71], v[176:179], v26, v43 op_sel_hi:[0,0,0] cbsz:4 blgp:4// 0000000058DC: D3AC6000 1802571A D3AD0CB0 8EC28918
	ds_write_b64 v8, v[200:201] offset:21760                   // 0000000058EC: D89A5500 0000C808
	ds_write_b64 v8, v[202:203] offset:30464                   // 0000000058F4: D89A7700 0000CA08
	v_mfma_scale_f32_16x16x128_f8f6f4 v[180:183], a[24:27], v[84:87], v[180:183], v26, v43 op_sel_hi:[0,0,0] cbsz:4 blgp:4// 0000000058FC: D3AC7000 1802571A D3AD0CB4 8ED2A918
	buffer_load_dwordx4 a[88:91], v62, s[12:15], 0 offen offset:1024// 00000000590C: E05C1400 8083583E
	v_mfma_scale_f32_16x16x128_f8f6f4 v[184:187], a[28:31], v[68:71], v[184:187], v26, v43 op_sel_hi:[0,0,0] cbsz:4 blgp:4// 000000005914: D3AC6800 1802571A D3AD0CB8 8EE2891C
	ds_write_b64 v8, v[204:205] offset:22304                   // 000000005924: D89A5720 0000CC08
	ds_write_b64 v8, v[206:207] offset:31008                   // 00000000592C: D89A7920 0000CE08
	v_mfma_scale_f32_16x16x128_f8f6f4 v[188:191], a[28:31], v[84:87], v[188:191], v26, v43 op_sel_hi:[0,0,0] cbsz:4 blgp:4// 000000005934: D3AC7800 1802571A D3AD0CBC 8EF2A91C
	buffer_load_dwordx4 a[92:95], v63, s[12:15], 0 offen offset:1024// 000000005944: E05C1400 80835C3F
	s_waitcnt vmcnt(18)                                        // 00000000594C: BF8C4F72
	v_mfma_scale_f32_16x16x128_f8f6f4 v[160:163], a[32:35], v[72:75], v[160:163], v27, v44 op_sel_hi:[0,0,0] cbsz:4 blgp:4// 000000005950: D3AC6000 0002591B D3AD0CA0 8E829120
	v_mfma_scale_f32_16x16x128_f8f6f4 v[164:167], a[32:35], v[88:91], v[164:167], v27, v44 op_sel_hi:[0,0,0] cbsz:4 blgp:4// 000000005960: D3AC7000 0002591B D3AD0CA4 8E92B120
	buffer_load_dwordx4 a[96:99], v60, s[12:15], 0 offen offset:2048// 000000005970: E05C1800 8083603C
	v_mfma_scale_f32_16x16x128_f8f6f4 v[168:171], a[36:39], v[72:75], v[168:171], v27, v44 op_sel_hi:[0,0,0] cbsz:4 blgp:4// 000000005978: D3AC6800 0002591B D3AD0CA8 8EA29124
	v_mfma_scale_f32_16x16x128_f8f6f4 v[172:175], a[36:39], v[88:91], v[172:175], v27, v44 op_sel_hi:[0,0,0] cbsz:4 blgp:4// 000000005988: D3AC7800 0002591B D3AD0CAC 8EB2B124
	buffer_load_dwordx4 a[100:103], v61, s[12:15], 0 offen offset:2048// 000000005998: E05C1800 8083643D
	s_waitcnt vmcnt(18)                                        // 0000000059A0: BF8C4F72
	v_mfma_scale_f32_16x16x128_f8f6f4 v[176:179], a[40:43], v[72:75], v[176:179], v28, v44 op_sel_hi:[0,0,0] cbsz:4 blgp:4// 0000000059A4: D3AC6000 0002591C D3AD0CB0 8EC29128
	v_mfma_scale_f32_16x16x128_f8f6f4 v[180:183], a[40:43], v[88:91], v[180:183], v28, v44 op_sel_hi:[0,0,0] cbsz:4 blgp:4// 0000000059B4: D3AC7000 0002591C D3AD0CB4 8ED2B128
	buffer_load_dwordx4 a[104:107], v62, s[12:15], 0 offen offset:2048// 0000000059C4: E05C1800 8083683E
	v_mfma_scale_f32_16x16x128_f8f6f4 v[184:187], a[44:47], v[72:75], v[184:187], v28, v44 op_sel_hi:[0,0,0] cbsz:4 blgp:4// 0000000059CC: D3AC6800 0002591C D3AD0CB8 8EE2912C
	v_mfma_scale_f32_16x16x128_f8f6f4 v[188:191], a[44:47], v[88:91], v[188:191], v28, v44 op_sel_hi:[0,0,0] cbsz:4 blgp:4// 0000000059DC: D3AC7800 0002591C D3AD0CBC 8EF2B12C
	buffer_load_dwordx4 a[108:111], v63, s[12:15], 0 offen offset:2048// 0000000059EC: E05C1800 80836C3F
	s_waitcnt vmcnt(18)                                        // 0000000059F4: BF8C4F72
	v_mfma_scale_f32_16x16x128_f8f6f4 v[160:163], a[48:51], v[76:79], v[160:163], v27, v44 op_sel_hi:[0,0,0] cbsz:4 blgp:4// 0000000059F8: D3AC6000 1802591B D3AD0CA0 8E829930
	v_mfma_scale_f32_16x16x128_f8f6f4 v[164:167], a[48:51], v[92:95], v[164:167], v27, v44 op_sel_hi:[0,0,0] cbsz:4 blgp:4// 000000005A08: D3AC7000 1802591B D3AD0CA4 8E92B930
	buffer_load_dwordx4 a[112:115], v60, s[12:15], 0 offen offset:3072// 000000005A18: E05C1C00 8083703C
	v_mfma_scale_f32_16x16x128_f8f6f4 v[168:171], a[52:55], v[76:79], v[168:171], v27, v44 op_sel_hi:[0,0,0] cbsz:4 blgp:4// 000000005A20: D3AC6800 1802591B D3AD0CA8 8EA29934
	v_mfma_scale_f32_16x16x128_f8f6f4 v[172:175], a[52:55], v[92:95], v[172:175], v27, v44 op_sel_hi:[0,0,0] cbsz:4 blgp:4// 000000005A30: D3AC7800 1802591B D3AD0CAC 8EB2B934
	buffer_load_dwordx4 a[116:119], v61, s[12:15], 0 offen offset:3072// 000000005A40: E05C1C00 8083743D
	s_waitcnt vmcnt(18)                                        // 000000005A48: BF8C4F72
	v_mfma_scale_f32_16x16x128_f8f6f4 v[176:179], a[56:59], v[76:79], v[176:179], v28, v44 op_sel_hi:[0,0,0] cbsz:4 blgp:4// 000000005A4C: D3AC6000 1802591C D3AD0CB0 8EC29938
	v_mfma_scale_f32_16x16x128_f8f6f4 v[180:183], a[56:59], v[92:95], v[180:183], v28, v44 op_sel_hi:[0,0,0] cbsz:4 blgp:4// 000000005A5C: D3AC7000 1802591C D3AD0CB4 8ED2B938
	buffer_load_dwordx4 a[120:123], v62, s[12:15], 0 offen offset:3072// 000000005A6C: E05C1C00 8083783E
	v_mfma_scale_f32_16x16x128_f8f6f4 v[184:187], a[60:63], v[76:79], v[184:187], v28, v44 op_sel_hi:[0,0,0] cbsz:4 blgp:4// 000000005A74: D3AC6800 1802591C D3AD0CB8 8EE2993C
	v_mfma_scale_f32_16x16x128_f8f6f4 v[188:191], a[60:63], v[92:95], v[188:191], v28, v44 op_sel_hi:[0,0,0] cbsz:4 blgp:4// 000000005A84: D3AC7800 1802591C D3AD0CBC 8EF2B93C
	buffer_load_dwordx4 a[124:127], v63, s[12:15], 0 offen offset:3072// 000000005A94: E05C1C00 80837C3F
	s_add_u32 s60, 0x200, s80                                  // 000000005A9C: 803C50FF 00000200
	s_cmp_lt_u32 s60, s81                                      // 000000005AA4: BF0A513C
	s_cselect_b32 s56, s56, 0                                  // 000000005AA8: 85388038
	s_cselect_b32 s78, s78, 0                                  // 000000005AAC: 854E804E
	s_cselect_b32 s79, s79, 0                                  // 000000005AB0: 854F804F
	s_add_u32 s12, s56, s12                                    // 000000005AB4: 800C0C38
	s_addc_u32 s13, 0, s13                                     // 000000005AB8: 820D0D80
	s_add_u32 s16, s79, s16                                    // 000000005ABC: 8010104F
	s_addc_u32 s17, 0, s17                                     // 000000005AC0: 82111180
	v_mov_b32_e32 v2, v41                                      // 000000005AC4: 7E040329
	v_mov_b32_e32 v3, v41                                      // 000000005AC8: 7E060329
	v_pk_mul_f32 v[160:161], v[2:3], v[160:161]                // 000000005ACC: D3B140A0 18034102
	v_pk_mul_f32 v[162:163], v[2:3], v[162:163]                // 000000005AD4: D3B140A2 18034502
	v_pk_mul_f32 v[168:169], v[2:3], v[168:169]                // 000000005ADC: D3B140A8 18035102
	v_pk_mul_f32 v[170:171], v[2:3], v[170:171]                // 000000005AE4: D3B140AA 18035502
	v_pk_mul_f32 v[176:177], v[2:3], v[176:177]                // 000000005AEC: D3B140B0 18036102
	v_pk_mul_f32 v[178:179], v[2:3], v[178:179]                // 000000005AF4: D3B140B2 18036502
	v_pk_mul_f32 v[184:185], v[2:3], v[184:185]                // 000000005AFC: D3B140B8 18037102
	v_pk_mul_f32 v[186:187], v[2:3], v[186:187]                // 000000005B04: D3B140BA 18037502
	v_mov_b32_e32 v2, v42                                      // 000000005B0C: 7E04032A
	v_mov_b32_e32 v3, v42                                      // 000000005B10: 7E06032A
	v_pk_mul_f32 v[164:165], v[2:3], v[164:165]                // 000000005B14: D3B140A4 18034902
	v_pk_mul_f32 v[166:167], v[2:3], v[166:167]                // 000000005B1C: D3B140A6 18034D02
	v_pk_mul_f32 v[172:173], v[2:3], v[172:173]                // 000000005B24: D3B140AC 18035902
	v_pk_mul_f32 v[174:175], v[2:3], v[174:175]                // 000000005B2C: D3B140AE 18035D02
	v_pk_mul_f32 v[180:181], v[2:3], v[180:181]                // 000000005B34: D3B140B4 18036902
	v_pk_mul_f32 v[182:183], v[2:3], v[182:183]                // 000000005B3C: D3B140B6 18036D02
	v_pk_mul_f32 v[188:189], v[2:3], v[188:189]                // 000000005B44: D3B140BC 18037902
	v_pk_mul_f32 v[190:191], v[2:3], v[190:191]                // 000000005B4C: D3B140BE 18037D02
	v_cvt_pk_bf16_f32 v160, v160, v161                         // 000000005B54: D26800A0 000343A0
	v_cvt_pk_bf16_f32 v161, v162, v163                         // 000000005B5C: D26800A1 000347A2
	v_cvt_pk_bf16_f32 v162, v164, v165                         // 000000005B64: D26800A2 00034BA4
	v_cvt_pk_bf16_f32 v163, v166, v167                         // 000000005B6C: D26800A3 00034FA6
	v_cvt_pk_bf16_f32 v164, v168, v169                         // 000000005B74: D26800A4 000353A8
	v_cvt_pk_bf16_f32 v165, v170, v171                         // 000000005B7C: D26800A5 000357AA
	v_cvt_pk_bf16_f32 v166, v172, v173                         // 000000005B84: D26800A6 00035BAC
	v_cvt_pk_bf16_f32 v167, v174, v175                         // 000000005B8C: D26800A7 00035FAE
	v_cvt_pk_bf16_f32 v168, v176, v177                         // 000000005B94: D26800A8 000363B0
	v_cvt_pk_bf16_f32 v169, v178, v179                         // 000000005B9C: D26800A9 000367B2
	v_cvt_pk_bf16_f32 v170, v180, v181                         // 000000005BA4: D26800AA 00036BB4
	v_cvt_pk_bf16_f32 v171, v182, v183                         // 000000005BAC: D26800AB 00036FB6
	v_cvt_pk_bf16_f32 v172, v184, v185                         // 000000005BB4: D26800AC 000373B8
	v_cvt_pk_bf16_f32 v173, v186, v187                         // 000000005BBC: D26800AD 000377BA
	v_cvt_pk_bf16_f32 v174, v188, v189                         // 000000005BC4: D26800AE 00037BBC
	v_cvt_pk_bf16_f32 v175, v190, v191                         // 000000005BCC: D26800AF 00037FBE
	s_cmp_ge_u32 s80, 0x200                                    // 000000005BD4: BF09FF50 00000200
	s_cselect_b32 s59, 0x200, s59                              // 000000005BDC: 853B3BFF 00000200
	s_setvskip s20, 0                                          // 000000005BE4: BF108014
	global_atomic_pk_add_bf16 v144, v128, s[8:9]               // 000000005BE8: DD488000 00088090
	s_setvskip 0, 0                                            // 000000005BF0: BF108080
	s_setvskip s20, 0                                          // 000000005BF4: BF108014
	global_atomic_pk_add_bf16 v144, v129, s[8:9] offset:256    // 000000005BF8: DD488100 00088190
	s_setvskip 0, 0                                            // 000000005C00: BF108080
	s_setvskip s20, 1                                          // 000000005C04: BF108114
	global_atomic_pk_add_bf16 v146, v130, s[8:9]               // 000000005C08: DD488000 00088292
	s_setvskip 0, 0                                            // 000000005C10: BF108080
	s_setvskip s20, 1                                          // 000000005C14: BF108114
	global_atomic_pk_add_bf16 v146, v131, s[8:9] offset:256    // 000000005C18: DD488100 00088392
	s_setvskip 0, 0                                            // 000000005C20: BF108080
	s_setvskip s20, 2                                          // 000000005C24: BF108214
	global_atomic_pk_add_bf16 v148, v132, s[8:9]               // 000000005C28: DD488000 00088494
	s_setvskip 0, 0                                            // 000000005C30: BF108080
	s_setvskip s20, 2                                          // 000000005C34: BF108214
	global_atomic_pk_add_bf16 v148, v133, s[8:9] offset:256    // 000000005C38: DD488100 00088594
	s_setvskip 0, 0                                            // 000000005C40: BF108080
	s_setvskip s20, 3                                          // 000000005C44: BF108314
	global_atomic_pk_add_bf16 v150, v134, s[8:9]               // 000000005C48: DD488000 00088696
	s_setvskip 0, 0                                            // 000000005C50: BF108080
	s_setvskip s20, 3                                          // 000000005C54: BF108314
	global_atomic_pk_add_bf16 v150, v135, s[8:9] offset:256    // 000000005C58: DD488100 00088796
	s_setvskip 0, 0                                            // 000000005C60: BF108080
	s_setvskip s20, 4                                          // 000000005C64: BF108414
	global_atomic_pk_add_bf16 v152, v136, s[8:9]               // 000000005C68: DD488000 00088898
	s_setvskip 0, 0                                            // 000000005C70: BF108080
	s_setvskip s20, 4                                          // 000000005C74: BF108414
	global_atomic_pk_add_bf16 v152, v137, s[8:9] offset:256    // 000000005C78: DD488100 00088998
	s_setvskip 0, 0                                            // 000000005C80: BF108080
	s_setvskip s20, 5                                          // 000000005C84: BF108514
	global_atomic_pk_add_bf16 v154, v138, s[8:9]               // 000000005C88: DD488000 00088A9A
	s_setvskip 0, 0                                            // 000000005C90: BF108080
	s_setvskip s20, 5                                          // 000000005C94: BF108514
	global_atomic_pk_add_bf16 v154, v139, s[8:9] offset:256    // 000000005C98: DD488100 00088B9A
	s_setvskip 0, 0                                            // 000000005CA0: BF108080
	s_setvskip s20, 6                                          // 000000005CA4: BF108614
	global_atomic_pk_add_bf16 v156, v140, s[8:9]               // 000000005CA8: DD488000 00088C9C
	s_setvskip 0, 0                                            // 000000005CB0: BF108080
	s_setvskip s20, 6                                          // 000000005CB4: BF108614
	global_atomic_pk_add_bf16 v156, v141, s[8:9] offset:256    // 000000005CB8: DD488100 00088D9C
	s_setvskip 0, 0                                            // 000000005CC0: BF108080
	s_setvskip s20, 7                                          // 000000005CC4: BF108714
	global_atomic_pk_add_bf16 v158, v142, s[8:9]               // 000000005CC8: DD488000 00088E9E
	s_setvskip 0, 0                                            // 000000005CD0: BF108080
	s_setvskip s20, 7                                          // 000000005CD4: BF108714
	global_atomic_pk_add_bf16 v158, v143, s[8:9] offset:256    // 000000005CD8: DD488100 00088F9E
	s_setvskip 0, 0                                            // 000000005CE0: BF108080
	s_add_u32 s8, s59, s8                                      // 000000005CE4: 8008083B
	s_addc_u32 s9, 0, s9                                       // 000000005CE8: 82090980
	s_addk_i32 s80, 0x100                                      // 000000005CEC: B7500100
	s_cmp_lt_i32 s80, s81                                      // 000000005CF0: BF045150
	s_cbranch_scc0 label_0DFB                                  // 000000005CF4: BF84017D
	s_waitcnt vmcnt(14) lgkmcnt(0)                             // 000000005CF8: BF8C007E
	s_barrier                                                  // 000000005CFC: BF8A0000
	v_mfma_scale_f32_16x16x128_f8f6f4 v[192:195], a[64:67], v[64:67], 0, v29, v43 op_sel_hi:[0,0,0] cbsz:4 blgp:4// 000000005D00: D3AC6000 0002571D D3AD0CC0 8A028140
	ds_read_b32 v128, v9 offset:17408                          // 000000005D10: D86C4400 80000009
	ds_read_b32 v129, v9 offset:21760                          // 000000005D18: D86C5500 81000009
	ds_read_b32 v130, v9 offset:17416                          // 000000005D20: D86C4408 82000009
	ds_read_b32 v131, v9 offset:21768                          // 000000005D28: D86C5508 83000009
	v_mfma_scale_f32_16x16x128_f8f6f4 v[196:199], a[64:67], v[80:83], 0, v29, v43 op_sel_hi:[0,0,0] cbsz:4 blgp:4// 000000005D30: D3AC7000 0002571D D3AD0CC4 8A02A140
	buffer_load_dwordx4 a[0:3], v60, s[12:15], 0 offen         // 000000005D40: E05C1000 8083003C
	v_mfma_scale_f32_16x16x128_f8f6f4 v[200:203], a[68:71], v[64:67], 0, v29, v43 op_sel_hi:[0,0,0] cbsz:4 blgp:4// 000000005D48: D3AC6800 0002571D D3AD0CC8 8A028144
	ds_read_b32 v132, v9 offset:17440                          // 000000005D58: D86C4420 84000009
	ds_read_b32 v133, v9 offset:21792                          // 000000005D60: D86C5520 85000009
	ds_read_b32 v134, v9 offset:17448                          // 000000005D68: D86C4428 86000009
	ds_read_b32 v135, v9 offset:21800                          // 000000005D70: D86C5528 87000009
	v_mfma_scale_f32_16x16x128_f8f6f4 v[204:207], a[68:71], v[80:83], 0, v29, v43 op_sel_hi:[0,0,0] cbsz:4 blgp:4// 000000005D78: D3AC7800 0002571D D3AD0CCC 8A02A144
	buffer_load_dwordx4 a[4:7], v61, s[12:15], 0 offen         // 000000005D88: E05C1000 8083043D
	buffer_load_dword v25, v10, s[16:19], 0 offen              // 000000005D90: E0501000 8004190A
	buffer_load_dword v26, v11, s[16:19], 0 offen              // 000000005D98: E0501000 80041A0B
	buffer_load_dword v27, v10, s[16:19], 0 offen offset:256   // 000000005DA0: E0501100 80041B0A
	buffer_load_dword v28, v11, s[16:19], 0 offen offset:256   // 000000005DA8: E0501100 80041C0B
	s_waitcnt vmcnt(18)                                        // 000000005DB0: BF8C4F72
	v_mfma_scale_f32_16x16x128_f8f6f4 v[208:211], a[72:75], v[64:67], 0, v30, v43 op_sel_hi:[0,0,0] cbsz:4 blgp:4// 000000005DB4: D3AC6000 0002571E D3AD0CD0 8A028148
	ds_read_b32 v136, v9 offset:26112                          // 000000005DC4: D86C6600 88000009
	ds_read_b32 v137, v9 offset:30464                          // 000000005DCC: D86C7700 89000009
	ds_read_b32 v138, v9 offset:26120                          // 000000005DD4: D86C6608 8A000009
	ds_read_b32 v139, v9 offset:30472                          // 000000005DDC: D86C7708 8B000009
	v_mfma_scale_f32_16x16x128_f8f6f4 v[212:215], a[72:75], v[80:83], 0, v30, v43 op_sel_hi:[0,0,0] cbsz:4 blgp:4// 000000005DE4: D3AC7000 0002571E D3AD0CD4 8A02A148
	buffer_load_dwordx4 a[8:11], v62, s[12:15], 0 offen        // 000000005DF4: E05C1000 8083083E
	v_mfma_scale_f32_16x16x128_f8f6f4 v[216:219], a[76:79], v[64:67], 0, v30, v43 op_sel_hi:[0,0,0] cbsz:4 blgp:4// 000000005DFC: D3AC6800 0002571E D3AD0CD8 8A02814C
	ds_read_b32 v140, v9 offset:26144                          // 000000005E0C: D86C6620 8C000009
	ds_read_b32 v141, v9 offset:30496                          // 000000005E14: D86C7720 8D000009
	ds_read_b32 v142, v9 offset:26152                          // 000000005E1C: D86C6628 8E000009
	ds_read_b32 v143, v9 offset:30504                          // 000000005E24: D86C7728 8F000009
	v_mfma_scale_f32_16x16x128_f8f6f4 v[220:223], a[76:79], v[80:83], 0, v30, v43 op_sel_hi:[0,0,0] cbsz:4 blgp:4// 000000005E2C: D3AC7800 0002571E D3AD0CDC 8A02A14C
	buffer_load_dwordx4 a[12:15], v63, s[12:15], 0 offen       // 000000005E3C: E05C1000 80830C3F
	buffer_load_dword v27, v10, s[16:19], 0 offen offset:256   // 000000005E44: E0501100 80041B0A
	buffer_load_dword v28, v11, s[16:19], 0 offen offset:256   // 000000005E4C: E0501100 80041C0B
	s_waitcnt vmcnt(18)                                        // 000000005E54: BF8C4F72
	v_mfma_scale_f32_16x16x128_f8f6f4 v[192:195], a[80:83], v[68:71], v[192:195], v29, v43 op_sel_hi:[0,0,0] cbsz:4 blgp:4// 000000005E58: D3AC6000 1802571D D3AD0CC0 8F028950
	ds_write_b64 v8, v[160:161]                                // 000000005E68: D89A0000 0000A008
	ds_write_b64 v8, v[162:163] offset:8704                    // 000000005E70: D89A2200 0000A208
	v_mfma_scale_f32_16x16x128_f8f6f4 v[196:199], a[80:83], v[84:87], v[196:199], v29, v43 op_sel_hi:[0,0,0] cbsz:4 blgp:4// 000000005E78: D3AC7000 1802571D D3AD0CC4 8F12A950
	buffer_load_dwordx4 a[16:19], v60, s[12:15], 0 offen offset:1024// 000000005E88: E05C1400 8083103C
	v_mfma_scale_f32_16x16x128_f8f6f4 v[200:203], a[84:87], v[68:71], v[200:203], v29, v43 op_sel_hi:[0,0,0] cbsz:4 blgp:4// 000000005E90: D3AC6800 1802571D D3AD0CC8 8F228954
	ds_write_b64 v8, v[164:165] offset:544                     // 000000005EA0: D89A0220 0000A408
	ds_write_b64 v8, v[166:167] offset:9248                    // 000000005EA8: D89A2420 0000A608
	v_mfma_scale_f32_16x16x128_f8f6f4 v[204:207], a[84:87], v[84:87], v[204:207], v29, v43 op_sel_hi:[0,0,0] cbsz:4 blgp:4// 000000005EB0: D3AC7800 1802571D D3AD0CCC 8F32A954
	buffer_load_dwordx4 a[20:23], v61, s[12:15], 0 offen offset:1024// 000000005EC0: E05C1400 8083143D
	s_waitcnt vmcnt(18)                                        // 000000005EC8: BF8C4F72
	v_mfma_scale_f32_16x16x128_f8f6f4 v[208:211], a[88:91], v[68:71], v[208:211], v30, v43 op_sel_hi:[0,0,0] cbsz:4 blgp:4// 000000005ECC: D3AC6000 1802571E D3AD0CD0 8F428958
	ds_write_b64 v8, v[168:169] offset:4352                    // 000000005EDC: D89A1100 0000A808
	ds_write_b64 v8, v[170:171] offset:13056                   // 000000005EE4: D89A3300 0000AA08
	v_mfma_scale_f32_16x16x128_f8f6f4 v[212:215], a[88:91], v[84:87], v[212:215], v30, v43 op_sel_hi:[0,0,0] cbsz:4 blgp:4// 000000005EEC: D3AC7000 1802571E D3AD0CD4 8F52A958
	buffer_load_dwordx4 a[24:27], v62, s[12:15], 0 offen offset:1024// 000000005EFC: E05C1400 8083183E
	v_mfma_scale_f32_16x16x128_f8f6f4 v[216:219], a[92:95], v[68:71], v[216:219], v30, v43 op_sel_hi:[0,0,0] cbsz:4 blgp:4// 000000005F04: D3AC6800 1802571E D3AD0CD8 8F62895C
	ds_write_b64 v8, v[172:173] offset:4896                    // 000000005F14: D89A1320 0000AC08
	ds_write_b64 v8, v[174:175] offset:13600                   // 000000005F1C: D89A3520 0000AE08
	v_mfma_scale_f32_16x16x128_f8f6f4 v[220:223], a[92:95], v[84:87], v[220:223], v30, v43 op_sel_hi:[0,0,0] cbsz:4 blgp:4// 000000005F24: D3AC7800 1802571E D3AD0CDC 8F72A95C
	buffer_load_dwordx4 a[28:31], v63, s[12:15], 0 offen offset:1024// 000000005F34: E05C1400 80831C3F
	s_waitcnt vmcnt(18)                                        // 000000005F3C: BF8C4F72
	v_mfma_scale_f32_16x16x128_f8f6f4 v[192:195], a[96:99], v[72:75], v[192:195], v31, v44 op_sel_hi:[0,0,0] cbsz:4 blgp:4// 000000005F40: D3AC6000 0002591F D3AD0CC0 8F029160
	v_mfma_scale_f32_16x16x128_f8f6f4 v[196:199], a[96:99], v[88:91], v[196:199], v31, v44 op_sel_hi:[0,0,0] cbsz:4 blgp:4// 000000005F50: D3AC7000 0002591F D3AD0CC4 8F12B160
	buffer_load_dwordx4 a[32:35], v60, s[12:15], 0 offen offset:2048// 000000005F60: E05C1800 8083203C
	v_mfma_scale_f32_16x16x128_f8f6f4 v[200:203], a[100:103], v[72:75], v[200:203], v31, v44 op_sel_hi:[0,0,0] cbsz:4 blgp:4// 000000005F68: D3AC6800 0002591F D3AD0CC8 8F229164
	v_mfma_scale_f32_16x16x128_f8f6f4 v[204:207], a[100:103], v[88:91], v[204:207], v31, v44 op_sel_hi:[0,0,0] cbsz:4 blgp:4// 000000005F78: D3AC7800 0002591F D3AD0CCC 8F32B164
	buffer_load_dwordx4 a[36:39], v61, s[12:15], 0 offen offset:2048// 000000005F88: E05C1800 8083243D
	s_waitcnt vmcnt(18)                                        // 000000005F90: BF8C4F72
	v_mfma_scale_f32_16x16x128_f8f6f4 v[208:211], a[104:107], v[72:75], v[208:211], v32, v44 op_sel_hi:[0,0,0] cbsz:4 blgp:4// 000000005F94: D3AC6000 00025920 D3AD0CD0 8F429168
	v_mfma_scale_f32_16x16x128_f8f6f4 v[212:215], a[104:107], v[88:91], v[212:215], v32, v44 op_sel_hi:[0,0,0] cbsz:4 blgp:4// 000000005FA4: D3AC7000 00025920 D3AD0CD4 8F52B168
	buffer_load_dwordx4 a[40:43], v62, s[12:15], 0 offen offset:2048// 000000005FB4: E05C1800 8083283E
	v_mfma_scale_f32_16x16x128_f8f6f4 v[216:219], a[108:111], v[72:75], v[216:219], v32, v44 op_sel_hi:[0,0,0] cbsz:4 blgp:4// 000000005FBC: D3AC6800 00025920 D3AD0CD8 8F62916C
	v_mfma_scale_f32_16x16x128_f8f6f4 v[220:223], a[108:111], v[88:91], v[220:223], v32, v44 op_sel_hi:[0,0,0] cbsz:4 blgp:4// 000000005FCC: D3AC7800 00025920 D3AD0CDC 8F72B16C
	buffer_load_dwordx4 a[44:47], v63, s[12:15], 0 offen offset:2048// 000000005FDC: E05C1800 80832C3F
	s_waitcnt vmcnt(18)                                        // 000000005FE4: BF8C4F72
	v_mfma_scale_f32_16x16x128_f8f6f4 v[192:195], a[112:115], v[76:79], v[192:195], v31, v44 op_sel_hi:[0,0,0] cbsz:4 blgp:4// 000000005FE8: D3AC6000 1802591F D3AD0CC0 8F029970
	v_mfma_scale_f32_16x16x128_f8f6f4 v[196:199], a[112:115], v[92:95], v[196:199], v31, v44 op_sel_hi:[0,0,0] cbsz:4 blgp:4// 000000005FF8: D3AC7000 1802591F D3AD0CC4 8F12B970
	buffer_load_dwordx4 a[48:51], v60, s[12:15], 0 offen offset:3072// 000000006008: E05C1C00 8083303C
	v_mfma_scale_f32_16x16x128_f8f6f4 v[200:203], a[116:119], v[76:79], v[200:203], v31, v44 op_sel_hi:[0,0,0] cbsz:4 blgp:4// 000000006010: D3AC6800 1802591F D3AD0CC8 8F229974
	v_mfma_scale_f32_16x16x128_f8f6f4 v[204:207], a[116:119], v[92:95], v[204:207], v31, v44 op_sel_hi:[0,0,0] cbsz:4 blgp:4// 000000006020: D3AC7800 1802591F D3AD0CCC 8F32B974
	buffer_load_dwordx4 a[52:55], v61, s[12:15], 0 offen offset:3072// 000000006030: E05C1C00 8083343D
	s_waitcnt vmcnt(18)                                        // 000000006038: BF8C4F72
	v_mfma_scale_f32_16x16x128_f8f6f4 v[208:211], a[120:123], v[76:79], v[208:211], v32, v44 op_sel_hi:[0,0,0] cbsz:4 blgp:4// 00000000603C: D3AC6000 18025920 D3AD0CD0 8F429978
	v_mfma_scale_f32_16x16x128_f8f6f4 v[212:215], a[120:123], v[92:95], v[212:215], v32, v44 op_sel_hi:[0,0,0] cbsz:4 blgp:4// 00000000604C: D3AC7000 18025920 D3AD0CD4 8F52B978
	buffer_load_dwordx4 a[56:59], v62, s[12:15], 0 offen offset:3072// 00000000605C: E05C1C00 8083383E
	v_mfma_scale_f32_16x16x128_f8f6f4 v[216:219], a[124:127], v[76:79], v[216:219], v32, v44 op_sel_hi:[0,0,0] cbsz:4 blgp:4// 000000006064: D3AC6800 18025920 D3AD0CD8 8F62997C
	v_mfma_scale_f32_16x16x128_f8f6f4 v[220:223], a[124:127], v[92:95], v[220:223], v32, v44 op_sel_hi:[0,0,0] cbsz:4 blgp:4// 000000006074: D3AC7800 18025920 D3AD0CDC 8F72B97C
	buffer_load_dwordx4 a[60:63], v63, s[12:15], 0 offen offset:3072// 000000006084: E05C1C00 80833C3F
	s_add_u32 s60, 0x200, s80                                  // 00000000608C: 803C50FF 00000200
	s_cmp_lt_u32 s60, s81                                      // 000000006094: BF0A513C
	s_cselect_b32 s56, s56, 0                                  // 000000006098: 85388038
	s_cselect_b32 s78, s78, 0                                  // 00000000609C: 854E804E
	s_cselect_b32 s79, s79, 0                                  // 0000000060A0: 854F804F
	s_add_u32 s12, s56, s12                                    // 0000000060A4: 800C0C38
	s_addc_u32 s13, 0, s13                                     // 0000000060A8: 820D0D80
	s_add_u32 s16, s79, s16                                    // 0000000060AC: 8010104F
	s_addc_u32 s17, 0, s17                                     // 0000000060B0: 82111180
	v_mov_b32_e32 v2, v41                                      // 0000000060B4: 7E040329
	v_mov_b32_e32 v3, v41                                      // 0000000060B8: 7E060329
	v_pk_mul_f32 v[192:193], v[2:3], v[192:193]                // 0000000060BC: D3B140C0 18038102
	v_pk_mul_f32 v[194:195], v[2:3], v[194:195]                // 0000000060C4: D3B140C2 18038502
	v_pk_mul_f32 v[200:201], v[2:3], v[200:201]                // 0000000060CC: D3B140C8 18039102
	v_pk_mul_f32 v[202:203], v[2:3], v[202:203]                // 0000000060D4: D3B140CA 18039502
	v_pk_mul_f32 v[208:209], v[2:3], v[208:209]                // 0000000060DC: D3B140D0 1803A102
	v_pk_mul_f32 v[210:211], v[2:3], v[210:211]                // 0000000060E4: D3B140D2 1803A502
	v_pk_mul_f32 v[216:217], v[2:3], v[216:217]                // 0000000060EC: D3B140D8 1803B102
	v_pk_mul_f32 v[218:219], v[2:3], v[218:219]                // 0000000060F4: D3B140DA 1803B502
	v_mov_b32_e32 v2, v42                                      // 0000000060FC: 7E04032A
	v_mov_b32_e32 v3, v42                                      // 000000006100: 7E06032A
	v_pk_mul_f32 v[196:197], v[2:3], v[196:197]                // 000000006104: D3B140C4 18038902
	v_pk_mul_f32 v[198:199], v[2:3], v[198:199]                // 00000000610C: D3B140C6 18038D02
	v_pk_mul_f32 v[204:205], v[2:3], v[204:205]                // 000000006114: D3B140CC 18039902
	v_pk_mul_f32 v[206:207], v[2:3], v[206:207]                // 00000000611C: D3B140CE 18039D02
	v_pk_mul_f32 v[212:213], v[2:3], v[212:213]                // 000000006124: D3B140D4 1803A902
	v_pk_mul_f32 v[214:215], v[2:3], v[214:215]                // 00000000612C: D3B140D6 1803AD02
	v_pk_mul_f32 v[220:221], v[2:3], v[220:221]                // 000000006134: D3B140DC 1803B902
	v_pk_mul_f32 v[222:223], v[2:3], v[222:223]                // 00000000613C: D3B140DE 1803BD02
	v_cvt_pk_bf16_f32 v192, v192, v193                         // 000000006144: D26800C0 000383C0
	v_cvt_pk_bf16_f32 v193, v194, v195                         // 00000000614C: D26800C1 000387C2
	v_cvt_pk_bf16_f32 v194, v196, v197                         // 000000006154: D26800C2 00038BC4
	v_cvt_pk_bf16_f32 v195, v198, v199                         // 00000000615C: D26800C3 00038FC6
	v_cvt_pk_bf16_f32 v196, v200, v201                         // 000000006164: D26800C4 000393C8
	v_cvt_pk_bf16_f32 v197, v202, v203                         // 00000000616C: D26800C5 000397CA
	v_cvt_pk_bf16_f32 v198, v204, v205                         // 000000006174: D26800C6 00039BCC
	v_cvt_pk_bf16_f32 v199, v206, v207                         // 00000000617C: D26800C7 00039FCE
	v_cvt_pk_bf16_f32 v200, v208, v209                         // 000000006184: D26800C8 0003A3D0
	v_cvt_pk_bf16_f32 v201, v210, v211                         // 00000000618C: D26800C9 0003A7D2
	v_cvt_pk_bf16_f32 v202, v212, v213                         // 000000006194: D26800CA 0003ABD4
	v_cvt_pk_bf16_f32 v203, v214, v215                         // 00000000619C: D26800CB 0003AFD6
	v_cvt_pk_bf16_f32 v204, v216, v217                         // 0000000061A4: D26800CC 0003B3D8
	v_cvt_pk_bf16_f32 v205, v218, v219                         // 0000000061AC: D26800CD 0003B7DA
	v_cvt_pk_bf16_f32 v206, v220, v221                         // 0000000061B4: D26800CE 0003BBDC
	v_cvt_pk_bf16_f32 v207, v222, v223                         // 0000000061BC: D26800CF 0003BFDE
	s_cmp_ge_u32 s80, 0x200                                    // 0000000061C4: BF09FF50 00000200
	s_cselect_b32 s59, 0x200, s59                              // 0000000061CC: 853B3BFF 00000200
	s_setvskip s20, 0                                          // 0000000061D4: BF108014
	global_atomic_pk_add_bf16 v144, v128, s[8:9]               // 0000000061D8: DD488000 00088090
	s_setvskip 0, 0                                            // 0000000061E0: BF108080
	s_setvskip s20, 0                                          // 0000000061E4: BF108014
	global_atomic_pk_add_bf16 v144, v129, s[8:9] offset:256    // 0000000061E8: DD488100 00088190
	s_setvskip 0, 0                                            // 0000000061F0: BF108080
	s_setvskip s20, 1                                          // 0000000061F4: BF108114
	global_atomic_pk_add_bf16 v146, v130, s[8:9]               // 0000000061F8: DD488000 00088292
	s_setvskip 0, 0                                            // 000000006200: BF108080
	s_setvskip s20, 1                                          // 000000006204: BF108114
	global_atomic_pk_add_bf16 v146, v131, s[8:9] offset:256    // 000000006208: DD488100 00088392
	s_setvskip 0, 0                                            // 000000006210: BF108080
	s_setvskip s20, 2                                          // 000000006214: BF108214
	global_atomic_pk_add_bf16 v148, v132, s[8:9]               // 000000006218: DD488000 00088494
	s_setvskip 0, 0                                            // 000000006220: BF108080
	s_setvskip s20, 2                                          // 000000006224: BF108214
	global_atomic_pk_add_bf16 v148, v133, s[8:9] offset:256    // 000000006228: DD488100 00088594
	s_setvskip 0, 0                                            // 000000006230: BF108080
	s_setvskip s20, 3                                          // 000000006234: BF108314
	global_atomic_pk_add_bf16 v150, v134, s[8:9]               // 000000006238: DD488000 00088696
	s_setvskip 0, 0                                            // 000000006240: BF108080
	s_setvskip s20, 3                                          // 000000006244: BF108314
	global_atomic_pk_add_bf16 v150, v135, s[8:9] offset:256    // 000000006248: DD488100 00088796
	s_setvskip 0, 0                                            // 000000006250: BF108080
	s_setvskip s20, 4                                          // 000000006254: BF108414
	global_atomic_pk_add_bf16 v152, v136, s[8:9]               // 000000006258: DD488000 00088898
	s_setvskip 0, 0                                            // 000000006260: BF108080
	s_setvskip s20, 4                                          // 000000006264: BF108414
	global_atomic_pk_add_bf16 v152, v137, s[8:9] offset:256    // 000000006268: DD488100 00088998
	s_setvskip 0, 0                                            // 000000006270: BF108080
	s_setvskip s20, 5                                          // 000000006274: BF108514
	global_atomic_pk_add_bf16 v154, v138, s[8:9]               // 000000006278: DD488000 00088A9A
	s_setvskip 0, 0                                            // 000000006280: BF108080
	s_setvskip s20, 5                                          // 000000006284: BF108514
	global_atomic_pk_add_bf16 v154, v139, s[8:9] offset:256    // 000000006288: DD488100 00088B9A
	s_setvskip 0, 0                                            // 000000006290: BF108080
	s_setvskip s20, 6                                          // 000000006294: BF108614
	global_atomic_pk_add_bf16 v156, v140, s[8:9]               // 000000006298: DD488000 00088C9C
	s_setvskip 0, 0                                            // 0000000062A0: BF108080
	s_setvskip s20, 6                                          // 0000000062A4: BF108614
	global_atomic_pk_add_bf16 v156, v141, s[8:9] offset:256    // 0000000062A8: DD488100 00088D9C
	s_setvskip 0, 0                                            // 0000000062B0: BF108080
	s_setvskip s20, 7                                          // 0000000062B4: BF108714
	global_atomic_pk_add_bf16 v158, v142, s[8:9]               // 0000000062B8: DD488000 00088E9E
	s_setvskip 0, 0                                            // 0000000062C0: BF108080
	s_setvskip s20, 7                                          // 0000000062C4: BF108714
	global_atomic_pk_add_bf16 v158, v143, s[8:9] offset:256    // 0000000062C8: DD488100 00088F9E
	s_setvskip 0, 0                                            // 0000000062D0: BF108080
	s_add_u32 s8, s59, s8                                      // 0000000062D4: 8008083B
	s_addc_u32 s9, 0, s9                                       // 0000000062D8: 82090980
	s_addk_i32 s80, 0x100                                      // 0000000062DC: B7500100
	s_cmp_lt_i32 s80, s81                                      // 0000000062E0: BF045150
	s_cbranch_scc0 label_0DFB                                  // 0000000062E4: BF840001
	s_branch label_0B02                                        // 0000000062E8: BF82FD07

00000000000062ec <label_0DFB>:
	s_nop 0                                                    // 0000000062EC: BF800000
	s_nop 0                                                    // 0000000062F0: BF800000
	s_branch label_1968                                        // 0000000062F4: BF820B6A

00000000000062f8 <label_0DFE>:
	s_waitcnt vmcnt(14) lgkmcnt(0)                             // 0000000062F8: BF8C007E
	s_barrier                                                  // 0000000062FC: BF8A0000
	v_mfma_scale_f32_16x16x128_f8f6f4 v[64:67], a[0:3], v[192:195], v[64:67], v25, v23 op_sel_hi:[0,0,0] cbsz:4 blgp:4// 000000006300: D3AC6000 00022F19 D3AD0C40 8D038100
	buffer_load_dwordx4 a[64:67], v52, s[92:95], 0 offen       // 000000006310: E05C1000 80974034
	buffer_load_dwordx4 v51, s[20:23], 0 offen lds             // 000000006318: E05D1000 80050033
	s_add_u32 m0, 0, s50                                       // 000000006320: 807C3280
	v_mfma_scale_f32_16x16x128_f8f6f4 v[96:99], a[0:3], v[200:203], v[96:99], v25, v23 op_sel_hi:[0,0,0] cbsz:4 blgp:4// 000000006324: D3AC7000 00022F19 D3AD0C60 8D839100
	v_mfma_scale_f32_16x16x128_f8f6f4 v[68:71], a[4:7], v[192:195], v[68:71], v25, v23 op_sel_hi:[0,0,0] cbsz:4 blgp:4// 000000006334: D3AC6800 00022F19 D3AD0C44 8D138104
	buffer_load_dwordx4 a[68:71], v53, s[92:95], 0 offen       // 000000006344: E05C1000 80974435
	buffer_load_dword v24, v12, s[28:31], 0 offen              // 00000000634C: E0501000 8007180C
	buffer_load_dword v33, v19, s[32:35], 0 offen              // 000000006354: E0501000 80082113
	buffer_load_dword v34, v20, s[32:35], 0 offen              // 00000000635C: E0501000 80082214
	buffer_load_dword v35, v21, s[32:35], 0 offen              // 000000006364: E0501000 80082315
	buffer_load_dword v36, v22, s[32:35], 0 offen              // 00000000636C: E0501000 80082416
	v_mfma_scale_f32_16x16x128_f8f6f4 v[100:103], a[4:7], v[200:203], v[100:103], v25, v23 op_sel_hi:[0,0,0] cbsz:4 blgp:4// 000000006374: D3AC7800 00022F19 D3AD0C64 8D939104
	s_waitcnt vmcnt(20)                                        // 000000006384: BF8C4F74
	v_mfma_scale_f32_16x16x128_f8f6f4 v[72:75], a[8:11], v[192:195], v[72:75], v26, v23 op_sel_hi:[0,0,0] cbsz:4 blgp:4// 000000006388: D3AC6000 00022F1A D3AD0C48 8D238108
	buffer_load_dwordx4 a[72:75], v54, s[92:95], 0 offen       // 000000006398: E05C1000 80974836
	v_mfma_scale_f32_16x16x128_f8f6f4 v[104:107], a[8:11], v[200:203], v[104:107], v26, v23 op_sel_hi:[0,0,0] cbsz:4 blgp:4// 0000000063A0: D3AC7000 00022F1A D3AD0C68 8DA39108
	v_mfma_scale_f32_16x16x128_f8f6f4 v[76:79], a[12:15], v[192:195], v[76:79], v26, v23 op_sel_hi:[0,0,0] cbsz:4 blgp:4// 0000000063B0: D3AC6800 00022F1A D3AD0C4C 8D33810C
	buffer_load_dwordx4 a[76:79], v55, s[92:95], 0 offen       // 0000000063C0: E05C1000 80974C37
	v_mfma_scale_f32_16x16x128_f8f6f4 v[108:111], a[12:15], v[200:203], v[108:111], v26, v23 op_sel_hi:[0,0,0] cbsz:4 blgp:4// 0000000063C8: D3AC7800 00022F1A D3AD0C6C 8DB3910C
	s_waitcnt vmcnt(20)                                        // 0000000063D8: BF8C4F74
	v_mfma_scale_f32_16x16x128_f8f6f4 v[80:83], a[16:19], v[192:195], v[80:83], v27, v23 op_sel_hi:[0,0,0] cbsz:4 blgp:4// 0000000063DC: D3AC6000 00022F1B D3AD0C50 8D438110
	buffer_load_dwordx4 a[80:83], v56, s[92:95], 0 offen       // 0000000063EC: E05C1000 80975038
	v_mfma_scale_f32_16x16x128_f8f6f4 v[112:115], a[16:19], v[200:203], v[112:115], v27, v23 op_sel_hi:[0,0,0] cbsz:4 blgp:4// 0000000063F4: D3AC7000 00022F1B D3AD0C70 8DC39110
	v_mfma_scale_f32_16x16x128_f8f6f4 v[84:87], a[20:23], v[192:195], v[84:87], v27, v23 op_sel_hi:[0,0,0] cbsz:4 blgp:4// 000000006404: D3AC6800 00022F1B D3AD0C54 8D538114
	buffer_load_dwordx4 a[84:87], v57, s[92:95], 0 offen       // 000000006414: E05C1000 80975439
	v_mfma_scale_f32_16x16x128_f8f6f4 v[116:119], a[20:23], v[200:203], v[116:119], v27, v23 op_sel_hi:[0,0,0] cbsz:4 blgp:4// 00000000641C: D3AC7800 00022F1B D3AD0C74 8DD39114
	s_waitcnt vmcnt(20)                                        // 00000000642C: BF8C4F74
	v_mfma_scale_f32_16x16x128_f8f6f4 v[88:91], a[24:27], v[192:195], v[88:91], v28, v23 op_sel_hi:[0,0,0] cbsz:4 blgp:4// 000000006430: D3AC6000 00022F1C D3AD0C58 8D638118
	buffer_load_dwordx4 a[88:91], v58, s[92:95], 0 offen       // 000000006440: E05C1000 8097583A
	v_mfma_scale_f32_16x16x128_f8f6f4 v[120:123], a[24:27], v[200:203], v[120:123], v28, v23 op_sel_hi:[0,0,0] cbsz:4 blgp:4// 000000006448: D3AC7000 00022F1C D3AD0C78 8DE39118
	v_mfma_scale_f32_16x16x128_f8f6f4 v[92:95], a[28:31], v[192:195], v[92:95], v28, v23 op_sel_hi:[0,0,0] cbsz:4 blgp:4// 000000006458: D3AC6800 00022F1C D3AD0C5C 8D73811C
	buffer_load_dwordx4 a[92:95], v59, s[92:95], 0 offen       // 000000006468: E05C1000 80975C3B
	v_mfma_scale_f32_16x16x128_f8f6f4 v[124:127], a[28:31], v[200:203], v[124:127], v28, v23 op_sel_hi:[0,0,0] cbsz:4 blgp:4// 000000006470: D3AC7800 00022F1C D3AD0C7C 8DF3911C
	s_nop 0                                                    // 000000006480: BF800000
	s_waitcnt vmcnt(20)                                        // 000000006484: BF8C4F74
	v_mfma_scale_f32_16x16x128_f8f6f4 v[64:67], a[32:35], v[196:199], v[64:67], v25, v23 op_sel_hi:[0,0,0] cbsz:4 blgp:4// 000000006488: D3AC6000 18022F19 D3AD0C40 8D038920
	buffer_load_dwordx4 a[96:99], v52, s[92:95], 0 offen offset:1024// 000000006498: E05C1400 80976034
	v_mfma_scale_f32_16x16x128_f8f6f4 v[96:99], a[32:35], v[204:207], v[96:99], v25, v23 op_sel_hi:[0,0,0] cbsz:4 blgp:4// 0000000064A0: D3AC7000 18022F19 D3AD0C60 8D839920
	v_mfma_scale_f32_16x16x128_f8f6f4 v[68:71], a[36:39], v[196:199], v[68:71], v25, v23 op_sel_hi:[0,0,0] cbsz:4 blgp:4// 0000000064B0: D3AC6800 18022F19 D3AD0C44 8D138924
	buffer_load_dwordx4 a[100:103], v53, s[92:95], 0 offen offset:1024// 0000000064C0: E05C1400 80976435
	v_mfma_scale_f32_16x16x128_f8f6f4 v[100:103], a[36:39], v[204:207], v[100:103], v25, v23 op_sel_hi:[0,0,0] cbsz:4 blgp:4// 0000000064C8: D3AC7800 18022F19 D3AD0C64 8D939924
	s_waitcnt vmcnt(20)                                        // 0000000064D8: BF8C4F74
	v_mfma_scale_f32_16x16x128_f8f6f4 v[72:75], a[40:43], v[196:199], v[72:75], v26, v23 op_sel_hi:[0,0,0] cbsz:4 blgp:4// 0000000064DC: D3AC6000 18022F1A D3AD0C48 8D238928
	buffer_load_dwordx4 a[104:107], v54, s[92:95], 0 offen offset:1024// 0000000064EC: E05C1400 80976836
	v_mfma_scale_f32_16x16x128_f8f6f4 v[104:107], a[40:43], v[204:207], v[104:107], v26, v23 op_sel_hi:[0,0,0] cbsz:4 blgp:4// 0000000064F4: D3AC7000 18022F1A D3AD0C68 8DA39928
	v_mfma_scale_f32_16x16x128_f8f6f4 v[76:79], a[44:47], v[196:199], v[76:79], v26, v23 op_sel_hi:[0,0,0] cbsz:4 blgp:4// 000000006504: D3AC6800 18022F1A D3AD0C4C 8D33892C
	buffer_load_dwordx4 a[108:111], v55, s[92:95], 0 offen offset:1024// 000000006514: E05C1400 80976C37
	v_mfma_scale_f32_16x16x128_f8f6f4 v[108:111], a[44:47], v[204:207], v[108:111], v26, v23 op_sel_hi:[0,0,0] cbsz:4 blgp:4// 00000000651C: D3AC7800 18022F1A D3AD0C6C 8DB3992C
	s_waitcnt vmcnt(20)                                        // 00000000652C: BF8C4F74
	v_mfma_scale_f32_16x16x128_f8f6f4 v[80:83], a[48:51], v[196:199], v[80:83], v27, v23 op_sel_hi:[0,0,0] cbsz:4 blgp:4// 000000006530: D3AC6000 18022F1B D3AD0C50 8D438930
	buffer_load_dwordx4 a[112:115], v56, s[92:95], 0 offen offset:1024// 000000006540: E05C1400 80977038
	v_mfma_scale_f32_16x16x128_f8f6f4 v[112:115], a[48:51], v[204:207], v[112:115], v27, v23 op_sel_hi:[0,0,0] cbsz:4 blgp:4// 000000006548: D3AC7000 18022F1B D3AD0C70 8DC39930
	v_mfma_scale_f32_16x16x128_f8f6f4 v[84:87], a[52:55], v[196:199], v[84:87], v27, v23 op_sel_hi:[0,0,0] cbsz:4 blgp:4// 000000006558: D3AC6800 18022F1B D3AD0C54 8D538934
	buffer_load_dwordx4 a[116:119], v57, s[92:95], 0 offen offset:1024// 000000006568: E05C1400 80977439
	v_mfma_scale_f32_16x16x128_f8f6f4 v[116:119], a[52:55], v[204:207], v[116:119], v27, v23 op_sel_hi:[0,0,0] cbsz:4 blgp:4// 000000006570: D3AC7800 18022F1B D3AD0C74 8DD39934
	s_waitcnt vmcnt(20)                                        // 000000006580: BF8C4F74
	v_mfma_scale_f32_16x16x128_f8f6f4 v[88:91], a[56:59], v[196:199], v[88:91], v28, v23 op_sel_hi:[0,0,0] cbsz:4 blgp:4// 000000006584: D3AC6000 18022F1C D3AD0C58 8D638938
	buffer_load_dwordx4 a[120:123], v58, s[92:95], 0 offen offset:1024// 000000006594: E05C1400 8097783A
	v_mfma_scale_f32_16x16x128_f8f6f4 v[120:123], a[56:59], v[204:207], v[120:123], v28, v23 op_sel_hi:[0,0,0] cbsz:4 blgp:4// 00000000659C: D3AC7000 18022F1C D3AD0C78 8DE39938
	v_mfma_scale_f32_16x16x128_f8f6f4 v[92:95], a[60:63], v[196:199], v[92:95], v28, v23 op_sel_hi:[0,0,0] cbsz:4 blgp:4// 0000000065AC: D3AC6800 18022F1C D3AD0C5C 8D73893C
	buffer_load_dwordx4 a[124:127], v59, s[92:95], 0 offen offset:1024// 0000000065BC: E05C1400 80977C3B
	v_mfma_scale_f32_16x16x128_f8f6f4 v[124:127], a[60:63], v[204:207], v[124:127], v28, v23 op_sel_hi:[0,0,0] cbsz:4 blgp:4// 0000000065C4: D3AC7800 18022F1C D3AD0C7C 8DF3993C
	s_add_u32 s60, 0x100, s80                                  // 0000000065D4: 803C50FF 00000100
	s_cmp_lt_u32 s60, s81                                      // 0000000065DC: BF0A513C
	s_cselect_b32 s4, s4, 0                                    // 0000000065E0: 85048004
	s_add_u32 s32, s4, s32                                     // 0000000065E4: 80202004
	s_addc_u32 s33, 0, s33                                     // 0000000065E8: 82212180
	s_waitcnt vmcnt(14)                                        // 0000000065EC: BF8C0F7E
	s_barrier                                                  // 0000000065F0: BF8A0000
	v_mfma_scale_f32_16x16x128_f8f6f4 v[128:131], a[64:67], v[192:195], v[128:131], v33, v23 op_sel_hi:[0,0,0] cbsz:4 blgp:4// 0000000065F4: D3AC6000 00022F21 D3AD0C80 8E038140
	buffer_load_dwordx4 a[0:3], v52, s[24:27], 0 offen         // 000000006604: E05C1000 80860034
	buffer_load_dword v29, v15, s[32:35], 0 offen              // 00000000660C: E0501000 80081D0F
	buffer_load_dword v30, v16, s[32:35], 0 offen              // 000000006614: E0501000 80081E10
	v_mfma_scale_f32_16x16x128_f8f6f4 v[160:163], a[64:67], v[200:203], v[160:163], v33, v23 op_sel_hi:[0,0,0] cbsz:4 blgp:4// 00000000661C: D3AC7000 00022F21 D3AD0CA0 8E839140
	v_mfma_scale_f32_16x16x128_f8f6f4 v[132:135], a[68:71], v[192:195], v[132:135], v33, v23 op_sel_hi:[0,0,0] cbsz:4 blgp:4// 00000000662C: D3AC6800 00022F21 D3AD0C84 8E138144
	buffer_load_dwordx4 a[4:7], v53, s[24:27], 0 offen         // 00000000663C: E05C1000 80860435
	buffer_load_dword v31, v17, s[32:35], 0 offen              // 000000006644: E0501000 80081F11
	buffer_load_dword v32, v18, s[32:35], 0 offen              // 00000000664C: E0501000 80082012
	v_mfma_scale_f32_16x16x128_f8f6f4 v[164:167], a[68:71], v[200:203], v[164:167], v33, v23 op_sel_hi:[0,0,0] cbsz:4 blgp:4// 000000006654: D3AC7800 00022F21 D3AD0CA4 8E939144
	s_waitcnt vmcnt(18)                                        // 000000006664: BF8C4F72
	v_mfma_scale_f32_16x16x128_f8f6f4 v[136:139], a[72:75], v[192:195], v[136:139], v34, v23 op_sel_hi:[0,0,0] cbsz:4 blgp:4// 000000006668: D3AC6000 00022F22 D3AD0C88 8E238148
	buffer_load_dwordx4 a[8:11], v54, s[24:27], 0 offen        // 000000006678: E05C1000 80860836
	v_mfma_scale_f32_16x16x128_f8f6f4 v[168:171], a[72:75], v[200:203], v[168:171], v34, v23 op_sel_hi:[0,0,0] cbsz:4 blgp:4// 000000006680: D3AC7000 00022F22 D3AD0CA8 8EA39148
	v_mfma_scale_f32_16x16x128_f8f6f4 v[140:143], a[76:79], v[192:195], v[140:143], v34, v23 op_sel_hi:[0,0,0] cbsz:4 blgp:4// 000000006690: D3AC6800 00022F22 D3AD0C8C 8E33814C
	buffer_load_dwordx4 a[12:15], v55, s[24:27], 0 offen       // 0000000066A0: E05C1000 80860C37
	v_mfma_scale_f32_16x16x128_f8f6f4 v[172:175], a[76:79], v[200:203], v[172:175], v34, v23 op_sel_hi:[0,0,0] cbsz:4 blgp:4// 0000000066A8: D3AC7800 00022F22 D3AD0CAC 8EB3914C
	s_waitcnt vmcnt(18)                                        // 0000000066B8: BF8C4F72
	v_mfma_scale_f32_16x16x128_f8f6f4 v[144:147], a[80:83], v[192:195], v[144:147], v35, v23 op_sel_hi:[0,0,0] cbsz:4 blgp:4// 0000000066BC: D3AC6000 00022F23 D3AD0C90 8E438150
	buffer_load_dwordx4 a[16:19], v56, s[24:27], 0 offen       // 0000000066CC: E05C1000 80861038
	v_mfma_scale_f32_16x16x128_f8f6f4 v[176:179], a[80:83], v[200:203], v[176:179], v35, v23 op_sel_hi:[0,0,0] cbsz:4 blgp:4// 0000000066D4: D3AC7000 00022F23 D3AD0CB0 8EC39150
	v_mfma_scale_f32_16x16x128_f8f6f4 v[148:151], a[84:87], v[192:195], v[148:151], v35, v23 op_sel_hi:[0,0,0] cbsz:4 blgp:4// 0000000066E4: D3AC6800 00022F23 D3AD0C94 8E538154
	buffer_load_dwordx4 a[20:23], v57, s[24:27], 0 offen       // 0000000066F4: E05C1000 80861439
	v_mfma_scale_f32_16x16x128_f8f6f4 v[180:183], a[84:87], v[200:203], v[180:183], v35, v23 op_sel_hi:[0,0,0] cbsz:4 blgp:4// 0000000066FC: D3AC7800 00022F23 D3AD0CB4 8ED39154
	s_waitcnt vmcnt(18)                                        // 00000000670C: BF8C4F72
	v_mfma_scale_f32_16x16x128_f8f6f4 v[152:155], a[88:91], v[192:195], v[152:155], v36, v23 op_sel_hi:[0,0,0] cbsz:4 blgp:4// 000000006710: D3AC6000 00022F24 D3AD0C98 8E638158
	buffer_load_dwordx4 a[24:27], v58, s[24:27], 0 offen       // 000000006720: E05C1000 8086183A
	v_mfma_scale_f32_16x16x128_f8f6f4 v[184:187], a[88:91], v[200:203], v[184:187], v36, v23 op_sel_hi:[0,0,0] cbsz:4 blgp:4// 000000006728: D3AC7000 00022F24 D3AD0CB8 8EE39158
	v_mfma_scale_f32_16x16x128_f8f6f4 v[156:159], a[92:95], v[192:195], v[156:159], v36, v23 op_sel_hi:[0,0,0] cbsz:4 blgp:4// 000000006738: D3AC6800 00022F24 D3AD0C9C 8E73815C
	buffer_load_dwordx4 a[28:31], v59, s[24:27], 0 offen       // 000000006748: E05C1000 80861C3B
	v_mfma_scale_f32_16x16x128_f8f6f4 v[188:191], a[92:95], v[200:203], v[188:191], v36, v23 op_sel_hi:[0,0,0] cbsz:4 blgp:4// 000000006750: D3AC7800 00022F24 D3AD0CBC 8EF3915C
	s_waitcnt vmcnt(18)                                        // 000000006760: BF8C4F72
	v_mfma_scale_f32_16x16x128_f8f6f4 v[128:131], a[96:99], v[196:199], v[128:131], v33, v23 op_sel_hi:[0,0,0] cbsz:4 blgp:4// 000000006764: D3AC6000 18022F21 D3AD0C80 8E038960
	buffer_load_dwordx4 a[32:35], v52, s[24:27], 0 offen offset:1024// 000000006774: E05C1400 80862034
	v_mfma_scale_f32_16x16x128_f8f6f4 v[160:163], a[96:99], v[204:207], v[160:163], v33, v23 op_sel_hi:[0,0,0] cbsz:4 blgp:4// 00000000677C: D3AC7000 18022F21 D3AD0CA0 8E839960
	ds_read_b128 v[208:211], v6 offset:4224                    // 00000000678C: D9FE1080 D0000006
	ds_read_b128 v[212:215], v6 offset:4288                    // 000000006794: D9FE10C0 D4000006
	v_mfma_scale_f32_16x16x128_f8f6f4 v[132:135], a[100:103], v[196:199], v[132:135], v33, v23 op_sel_hi:[0,0,0] cbsz:4 blgp:4// 00000000679C: D3AC6800 18022F21 D3AD0C84 8E138964
	buffer_load_dwordx4 a[36:39], v53, s[24:27], 0 offen offset:1024// 0000000067AC: E05C1400 80862435
	v_mfma_scale_f32_16x16x128_f8f6f4 v[164:167], a[100:103], v[204:207], v[164:167], v33, v23 op_sel_hi:[0,0,0] cbsz:4 blgp:4// 0000000067B4: D3AC7800 18022F21 D3AD0CA4 8E939964
	ds_read_b128 v[216:219], v6 offset:4736                    // 0000000067C4: D9FE1280 D8000006
	ds_read_b128 v[220:223], v6 offset:4800                    // 0000000067CC: D9FE12C0 DC000006
	s_waitcnt vmcnt(18)                                        // 0000000067D4: BF8C4F72
	v_mfma_scale_f32_16x16x128_f8f6f4 v[136:139], a[104:107], v[196:199], v[136:139], v34, v23 op_sel_hi:[0,0,0] cbsz:4 blgp:4// 0000000067D8: D3AC6000 18022F22 D3AD0C88 8E238968
	buffer_load_dwordx4 a[40:43], v54, s[24:27], 0 offen offset:1024// 0000000067E8: E05C1400 80862836
	v_mfma_scale_f32_16x16x128_f8f6f4 v[168:171], a[104:107], v[204:207], v[168:171], v34, v23 op_sel_hi:[0,0,0] cbsz:4 blgp:4// 0000000067F0: D3AC7000 18022F22 D3AD0CA8 8EA39968
	v_mfma_scale_f32_16x16x128_f8f6f4 v[140:143], a[108:111], v[196:199], v[140:143], v34, v23 op_sel_hi:[0,0,0] cbsz:4 blgp:4// 000000006800: D3AC6800 18022F22 D3AD0C8C 8E33896C
	buffer_load_dwordx4 a[44:47], v55, s[24:27], 0 offen offset:1024// 000000006810: E05C1400 80862C37
	v_mfma_scale_f32_16x16x128_f8f6f4 v[172:175], a[108:111], v[204:207], v[172:175], v34, v23 op_sel_hi:[0,0,0] cbsz:4 blgp:4// 000000006818: D3AC7800 18022F22 D3AD0CAC 8EB3996C
	s_waitcnt vmcnt(18)                                        // 000000006828: BF8C4F72
	v_mfma_scale_f32_16x16x128_f8f6f4 v[144:147], a[112:115], v[196:199], v[144:147], v35, v23 op_sel_hi:[0,0,0] cbsz:4 blgp:4// 00000000682C: D3AC6000 18022F23 D3AD0C90 8E438970
	buffer_load_dwordx4 a[48:51], v56, s[24:27], 0 offen offset:1024// 00000000683C: E05C1400 80863038
	v_mfma_scale_f32_16x16x128_f8f6f4 v[176:179], a[112:115], v[204:207], v[176:179], v35, v23 op_sel_hi:[0,0,0] cbsz:4 blgp:4// 000000006844: D3AC7000 18022F23 D3AD0CB0 8EC39970
	v_mfma_scale_f32_16x16x128_f8f6f4 v[148:151], a[116:119], v[196:199], v[148:151], v35, v23 op_sel_hi:[0,0,0] cbsz:4 blgp:4// 000000006854: D3AC6800 18022F23 D3AD0C94 8E538974
	buffer_load_dwordx4 a[52:55], v57, s[24:27], 0 offen offset:1024// 000000006864: E05C1400 80863439
	v_mfma_scale_f32_16x16x128_f8f6f4 v[180:183], a[116:119], v[204:207], v[180:183], v35, v23 op_sel_hi:[0,0,0] cbsz:4 blgp:4// 00000000686C: D3AC7800 18022F23 D3AD0CB4 8ED39974
	s_waitcnt vmcnt(18)                                        // 00000000687C: BF8C4F72
	v_mfma_scale_f32_16x16x128_f8f6f4 v[152:155], a[120:123], v[196:199], v[152:155], v36, v23 op_sel_hi:[0,0,0] cbsz:4 blgp:4// 000000006880: D3AC6000 18022F24 D3AD0C98 8E638978
	buffer_load_dwordx4 a[56:59], v58, s[24:27], 0 offen offset:1024// 000000006890: E05C1400 8086383A
	v_mfma_scale_f32_16x16x128_f8f6f4 v[184:187], a[120:123], v[204:207], v[184:187], v36, v23 op_sel_hi:[0,0,0] cbsz:4 blgp:4// 000000006898: D3AC7000 18022F24 D3AD0CB8 8EE39978
	v_mfma_scale_f32_16x16x128_f8f6f4 v[156:159], a[124:127], v[196:199], v[156:159], v36, v23 op_sel_hi:[0,0,0] cbsz:4 blgp:4// 0000000068A8: D3AC6800 18022F24 D3AD0C9C 8E73897C
	buffer_load_dwordx4 a[60:63], v59, s[24:27], 0 offen offset:1024// 0000000068B8: E05C1400 80863C3B
	v_mfma_scale_f32_16x16x128_f8f6f4 v[188:191], a[124:127], v[204:207], v[188:191], v36, v23 op_sel_hi:[0,0,0] cbsz:4 blgp:4// 0000000068C0: D3AC7800 18022F24 D3AD0CBC 8EF3997C
	s_add_u32 s60, 0x200, s80                                  // 0000000068D0: 803C50FF 00000200
	s_cmp_lt_u32 s60, s81                                      // 0000000068D8: BF0A513C
	s_cselect_b32 s57, s57, 0                                  // 0000000068DC: 85398039
	s_cselect_b32 s3, s3, 0                                    // 0000000068E0: 85038003
	s_add_u32 s60, 0x200, s80                                  // 0000000068E4: 803C50FF 00000200
	s_cmp_lt_u32 s60, s81                                      // 0000000068EC: BF0A513C
	s_cselect_b32 s58, s58, 0                                  // 0000000068F0: 853A803A
	s_add_u32 s20, s57, s20                                    // 0000000068F4: 80141439
	s_addc_u32 s21, 0, s21                                     // 0000000068F8: 82151580
	s_add_u32 s28, s3, s28                                     // 0000000068FC: 801C1C03
	s_addc_u32 s29, 0, s29                                     // 000000006900: 821D1D80
	s_add_u32 s24, s58, s24                                    // 000000006904: 8018183A
	s_addc_u32 s25, 0, s25                                     // 000000006908: 82191980
	s_add_u32 s92, s90, s92                                    // 00000000690C: 805C5C5A
	s_addc_u32 s93, 0, s93                                     // 000000006910: 825D5D80
	s_addk_i32 s80, 0x100                                      // 000000006914: B7500100
	s_cmp_lt_i32 s80, s81                                      // 000000006918: BF045150
	s_cbranch_scc0 label_1113                                  // 00000000691C: BF84018B
	s_waitcnt vmcnt(14) lgkmcnt(0)                             // 000000006920: BF8C007E
	s_barrier                                                  // 000000006924: BF8A0000
	v_mfma_scale_f32_16x16x128_f8f6f4 v[64:67], a[0:3], v[208:211], v[64:67], v29, v24 op_sel_hi:[0,0,0] cbsz:4 blgp:4// 000000006928: D3AC6000 0002311D D3AD0C40 8D03A100
	buffer_load_dwordx4 a[64:67], v52, s[92:95], 0 offen       // 000000006938: E05C1000 80974034
	buffer_load_dwordx4 v51, s[20:23], 0 offen lds             // 000000006940: E05D1000 80050033
	s_add_u32 m0, 0, s51                                       // 000000006948: 807C3380
	v_mfma_scale_f32_16x16x128_f8f6f4 v[96:99], a[0:3], v[216:219], v[96:99], v29, v24 op_sel_hi:[0,0,0] cbsz:4 blgp:4// 00000000694C: D3AC7000 0002311D D3AD0C60 8D83B100
	v_mfma_scale_f32_16x16x128_f8f6f4 v[68:71], a[4:7], v[208:211], v[68:71], v29, v24 op_sel_hi:[0,0,0] cbsz:4 blgp:4// 00000000695C: D3AC6800 0002311D D3AD0C44 8D13A104
	buffer_load_dwordx4 a[68:71], v53, s[92:95], 0 offen       // 00000000696C: E05C1000 80974435
	buffer_load_dword v23, v12, s[28:31], 0 offen              // 000000006974: E0501000 8007170C
	buffer_load_dword v37, v19, s[32:35], 0 offen              // 00000000697C: E0501000 80082513
	buffer_load_dword v38, v20, s[32:35], 0 offen              // 000000006984: E0501000 80082614
	buffer_load_dword v39, v21, s[32:35], 0 offen              // 00000000698C: E0501000 80082715
	buffer_load_dword v40, v22, s[32:35], 0 offen              // 000000006994: E0501000 80082816
	v_mfma_scale_f32_16x16x128_f8f6f4 v[100:103], a[4:7], v[216:219], v[100:103], v29, v24 op_sel_hi:[0,0,0] cbsz:4 blgp:4// 00000000699C: D3AC7800 0002311D D3AD0C64 8D93B104
	s_waitcnt vmcnt(20)                                        // 0000000069AC: BF8C4F74
	v_mfma_scale_f32_16x16x128_f8f6f4 v[72:75], a[8:11], v[208:211], v[72:75], v30, v24 op_sel_hi:[0,0,0] cbsz:4 blgp:4// 0000000069B0: D3AC6000 0002311E D3AD0C48 8D23A108
	buffer_load_dwordx4 a[72:75], v54, s[92:95], 0 offen       // 0000000069C0: E05C1000 80974836
	v_mfma_scale_f32_16x16x128_f8f6f4 v[104:107], a[8:11], v[216:219], v[104:107], v30, v24 op_sel_hi:[0,0,0] cbsz:4 blgp:4// 0000000069C8: D3AC7000 0002311E D3AD0C68 8DA3B108
	v_mfma_scale_f32_16x16x128_f8f6f4 v[76:79], a[12:15], v[208:211], v[76:79], v30, v24 op_sel_hi:[0,0,0] cbsz:4 blgp:4// 0000000069D8: D3AC6800 0002311E D3AD0C4C 8D33A10C
	buffer_load_dwordx4 a[76:79], v55, s[92:95], 0 offen       // 0000000069E8: E05C1000 80974C37
	v_mfma_scale_f32_16x16x128_f8f6f4 v[108:111], a[12:15], v[216:219], v[108:111], v30, v24 op_sel_hi:[0,0,0] cbsz:4 blgp:4// 0000000069F0: D3AC7800 0002311E D3AD0C6C 8DB3B10C
	s_waitcnt vmcnt(20)                                        // 000000006A00: BF8C4F74
	v_mfma_scale_f32_16x16x128_f8f6f4 v[80:83], a[16:19], v[208:211], v[80:83], v31, v24 op_sel_hi:[0,0,0] cbsz:4 blgp:4// 000000006A04: D3AC6000 0002311F D3AD0C50 8D43A110
	buffer_load_dwordx4 a[80:83], v56, s[92:95], 0 offen       // 000000006A14: E05C1000 80975038
	v_mfma_scale_f32_16x16x128_f8f6f4 v[112:115], a[16:19], v[216:219], v[112:115], v31, v24 op_sel_hi:[0,0,0] cbsz:4 blgp:4// 000000006A1C: D3AC7000 0002311F D3AD0C70 8DC3B110
	v_mfma_scale_f32_16x16x128_f8f6f4 v[84:87], a[20:23], v[208:211], v[84:87], v31, v24 op_sel_hi:[0,0,0] cbsz:4 blgp:4// 000000006A2C: D3AC6800 0002311F D3AD0C54 8D53A114
	buffer_load_dwordx4 a[84:87], v57, s[92:95], 0 offen       // 000000006A3C: E05C1000 80975439
	v_mfma_scale_f32_16x16x128_f8f6f4 v[116:119], a[20:23], v[216:219], v[116:119], v31, v24 op_sel_hi:[0,0,0] cbsz:4 blgp:4// 000000006A44: D3AC7800 0002311F D3AD0C74 8DD3B114
	s_waitcnt vmcnt(20)                                        // 000000006A54: BF8C4F74
	v_mfma_scale_f32_16x16x128_f8f6f4 v[88:91], a[24:27], v[208:211], v[88:91], v32, v24 op_sel_hi:[0,0,0] cbsz:4 blgp:4// 000000006A58: D3AC6000 00023120 D3AD0C58 8D63A118
	buffer_load_dwordx4 a[88:91], v58, s[92:95], 0 offen       // 000000006A68: E05C1000 8097583A
	v_mfma_scale_f32_16x16x128_f8f6f4 v[120:123], a[24:27], v[216:219], v[120:123], v32, v24 op_sel_hi:[0,0,0] cbsz:4 blgp:4// 000000006A70: D3AC7000 00023120 D3AD0C78 8DE3B118
	v_mfma_scale_f32_16x16x128_f8f6f4 v[92:95], a[28:31], v[208:211], v[92:95], v32, v24 op_sel_hi:[0,0,0] cbsz:4 blgp:4// 000000006A80: D3AC6800 00023120 D3AD0C5C 8D73A11C
	buffer_load_dwordx4 a[92:95], v59, s[92:95], 0 offen       // 000000006A90: E05C1000 80975C3B
	v_mfma_scale_f32_16x16x128_f8f6f4 v[124:127], a[28:31], v[216:219], v[124:127], v32, v24 op_sel_hi:[0,0,0] cbsz:4 blgp:4// 000000006A98: D3AC7800 00023120 D3AD0C7C 8DF3B11C
	s_nop 0                                                    // 000000006AA8: BF800000
	s_waitcnt vmcnt(20)                                        // 000000006AAC: BF8C4F74
	v_mfma_scale_f32_16x16x128_f8f6f4 v[64:67], a[32:35], v[212:215], v[64:67], v29, v24 op_sel_hi:[0,0,0] cbsz:4 blgp:4// 000000006AB0: D3AC6000 1802311D D3AD0C40 8D03A920
	buffer_load_dwordx4 a[96:99], v52, s[92:95], 0 offen offset:1024// 000000006AC0: E05C1400 80976034
	v_mfma_scale_f32_16x16x128_f8f6f4 v[96:99], a[32:35], v[220:223], v[96:99], v29, v24 op_sel_hi:[0,0,0] cbsz:4 blgp:4// 000000006AC8: D3AC7000 1802311D D3AD0C60 8D83B920
	v_mfma_scale_f32_16x16x128_f8f6f4 v[68:71], a[36:39], v[212:215], v[68:71], v29, v24 op_sel_hi:[0,0,0] cbsz:4 blgp:4// 000000006AD8: D3AC6800 1802311D D3AD0C44 8D13A924
	buffer_load_dwordx4 a[100:103], v53, s[92:95], 0 offen offset:1024// 000000006AE8: E05C1400 80976435
	v_mfma_scale_f32_16x16x128_f8f6f4 v[100:103], a[36:39], v[220:223], v[100:103], v29, v24 op_sel_hi:[0,0,0] cbsz:4 blgp:4// 000000006AF0: D3AC7800 1802311D D3AD0C64 8D93B924
	s_waitcnt vmcnt(20)                                        // 000000006B00: BF8C4F74
	v_mfma_scale_f32_16x16x128_f8f6f4 v[72:75], a[40:43], v[212:215], v[72:75], v30, v24 op_sel_hi:[0,0,0] cbsz:4 blgp:4// 000000006B04: D3AC6000 1802311E D3AD0C48 8D23A928
	buffer_load_dwordx4 a[104:107], v54, s[92:95], 0 offen offset:1024// 000000006B14: E05C1400 80976836
	v_mfma_scale_f32_16x16x128_f8f6f4 v[104:107], a[40:43], v[220:223], v[104:107], v30, v24 op_sel_hi:[0,0,0] cbsz:4 blgp:4// 000000006B1C: D3AC7000 1802311E D3AD0C68 8DA3B928
	v_mfma_scale_f32_16x16x128_f8f6f4 v[76:79], a[44:47], v[212:215], v[76:79], v30, v24 op_sel_hi:[0,0,0] cbsz:4 blgp:4// 000000006B2C: D3AC6800 1802311E D3AD0C4C 8D33A92C
	buffer_load_dwordx4 a[108:111], v55, s[92:95], 0 offen offset:1024// 000000006B3C: E05C1400 80976C37
	v_mfma_scale_f32_16x16x128_f8f6f4 v[108:111], a[44:47], v[220:223], v[108:111], v30, v24 op_sel_hi:[0,0,0] cbsz:4 blgp:4// 000000006B44: D3AC7800 1802311E D3AD0C6C 8DB3B92C
	s_waitcnt vmcnt(20)                                        // 000000006B54: BF8C4F74
	v_mfma_scale_f32_16x16x128_f8f6f4 v[80:83], a[48:51], v[212:215], v[80:83], v31, v24 op_sel_hi:[0,0,0] cbsz:4 blgp:4// 000000006B58: D3AC6000 1802311F D3AD0C50 8D43A930
	buffer_load_dwordx4 a[112:115], v56, s[92:95], 0 offen offset:1024// 000000006B68: E05C1400 80977038
	v_mfma_scale_f32_16x16x128_f8f6f4 v[112:115], a[48:51], v[220:223], v[112:115], v31, v24 op_sel_hi:[0,0,0] cbsz:4 blgp:4// 000000006B70: D3AC7000 1802311F D3AD0C70 8DC3B930
	v_mfma_scale_f32_16x16x128_f8f6f4 v[84:87], a[52:55], v[212:215], v[84:87], v31, v24 op_sel_hi:[0,0,0] cbsz:4 blgp:4// 000000006B80: D3AC6800 1802311F D3AD0C54 8D53A934
	buffer_load_dwordx4 a[116:119], v57, s[92:95], 0 offen offset:1024// 000000006B90: E05C1400 80977439
	v_mfma_scale_f32_16x16x128_f8f6f4 v[116:119], a[52:55], v[220:223], v[116:119], v31, v24 op_sel_hi:[0,0,0] cbsz:4 blgp:4// 000000006B98: D3AC7800 1802311F D3AD0C74 8DD3B934
	s_waitcnt vmcnt(20)                                        // 000000006BA8: BF8C4F74
	v_mfma_scale_f32_16x16x128_f8f6f4 v[88:91], a[56:59], v[212:215], v[88:91], v32, v24 op_sel_hi:[0,0,0] cbsz:4 blgp:4// 000000006BAC: D3AC6000 18023120 D3AD0C58 8D63A938
	buffer_load_dwordx4 a[120:123], v58, s[92:95], 0 offen offset:1024// 000000006BBC: E05C1400 8097783A
	v_mfma_scale_f32_16x16x128_f8f6f4 v[120:123], a[56:59], v[220:223], v[120:123], v32, v24 op_sel_hi:[0,0,0] cbsz:4 blgp:4// 000000006BC4: D3AC7000 18023120 D3AD0C78 8DE3B938
	v_mfma_scale_f32_16x16x128_f8f6f4 v[92:95], a[60:63], v[212:215], v[92:95], v32, v24 op_sel_hi:[0,0,0] cbsz:4 blgp:4// 000000006BD4: D3AC6800 18023120 D3AD0C5C 8D73A93C
	buffer_load_dwordx4 a[124:127], v59, s[92:95], 0 offen offset:1024// 000000006BE4: E05C1400 80977C3B
	v_mfma_scale_f32_16x16x128_f8f6f4 v[124:127], a[60:63], v[220:223], v[124:127], v32, v24 op_sel_hi:[0,0,0] cbsz:4 blgp:4// 000000006BEC: D3AC7800 18023120 D3AD0C7C 8DF3B93C
	s_add_u32 s60, 0x100, s80                                  // 000000006BFC: 803C50FF 00000100
	s_cmp_lt_u32 s60, s81                                      // 000000006C04: BF0A513C
	s_cselect_b32 s4, s4, 0                                    // 000000006C08: 85048004
	s_add_u32 s32, s4, s32                                     // 000000006C0C: 80202004
	s_addc_u32 s33, 0, s33                                     // 000000006C10: 82212180
	s_waitcnt vmcnt(14)                                        // 000000006C14: BF8C0F7E
	s_barrier                                                  // 000000006C18: BF8A0000
	v_mfma_scale_f32_16x16x128_f8f6f4 v[128:131], a[64:67], v[208:211], v[128:131], v37, v24 op_sel_hi:[0,0,0] cbsz:4 blgp:4// 000000006C1C: D3AC6000 00023125 D3AD0C80 8E03A140
	buffer_load_dwordx4 a[0:3], v52, s[24:27], 0 offen         // 000000006C2C: E05C1000 80860034
	buffer_load_dword v25, v15, s[32:35], 0 offen              // 000000006C34: E0501000 8008190F
	buffer_load_dword v26, v16, s[32:35], 0 offen              // 000000006C3C: E0501000 80081A10
	v_mfma_scale_f32_16x16x128_f8f6f4 v[160:163], a[64:67], v[216:219], v[160:163], v37, v24 op_sel_hi:[0,0,0] cbsz:4 blgp:4// 000000006C44: D3AC7000 00023125 D3AD0CA0 8E83B140
	v_mfma_scale_f32_16x16x128_f8f6f4 v[132:135], a[68:71], v[208:211], v[132:135], v37, v24 op_sel_hi:[0,0,0] cbsz:4 blgp:4// 000000006C54: D3AC6800 00023125 D3AD0C84 8E13A144
	buffer_load_dwordx4 a[4:7], v53, s[24:27], 0 offen         // 000000006C64: E05C1000 80860435
	buffer_load_dword v27, v17, s[32:35], 0 offen              // 000000006C6C: E0501000 80081B11
	buffer_load_dword v28, v18, s[32:35], 0 offen              // 000000006C74: E0501000 80081C12
	v_mfma_scale_f32_16x16x128_f8f6f4 v[164:167], a[68:71], v[216:219], v[164:167], v37, v24 op_sel_hi:[0,0,0] cbsz:4 blgp:4// 000000006C7C: D3AC7800 00023125 D3AD0CA4 8E93B144
	s_waitcnt vmcnt(18)                                        // 000000006C8C: BF8C4F72
	v_mfma_scale_f32_16x16x128_f8f6f4 v[136:139], a[72:75], v[208:211], v[136:139], v38, v24 op_sel_hi:[0,0,0] cbsz:4 blgp:4// 000000006C90: D3AC6000 00023126 D3AD0C88 8E23A148
	buffer_load_dwordx4 a[8:11], v54, s[24:27], 0 offen        // 000000006CA0: E05C1000 80860836
	v_mfma_scale_f32_16x16x128_f8f6f4 v[168:171], a[72:75], v[216:219], v[168:171], v38, v24 op_sel_hi:[0,0,0] cbsz:4 blgp:4// 000000006CA8: D3AC7000 00023126 D3AD0CA8 8EA3B148
	v_mfma_scale_f32_16x16x128_f8f6f4 v[140:143], a[76:79], v[208:211], v[140:143], v38, v24 op_sel_hi:[0,0,0] cbsz:4 blgp:4// 000000006CB8: D3AC6800 00023126 D3AD0C8C 8E33A14C
	buffer_load_dwordx4 a[12:15], v55, s[24:27], 0 offen       // 000000006CC8: E05C1000 80860C37
	v_mfma_scale_f32_16x16x128_f8f6f4 v[172:175], a[76:79], v[216:219], v[172:175], v38, v24 op_sel_hi:[0,0,0] cbsz:4 blgp:4// 000000006CD0: D3AC7800 00023126 D3AD0CAC 8EB3B14C
	s_waitcnt vmcnt(18)                                        // 000000006CE0: BF8C4F72
	v_mfma_scale_f32_16x16x128_f8f6f4 v[144:147], a[80:83], v[208:211], v[144:147], v39, v24 op_sel_hi:[0,0,0] cbsz:4 blgp:4// 000000006CE4: D3AC6000 00023127 D3AD0C90 8E43A150
	buffer_load_dwordx4 a[16:19], v56, s[24:27], 0 offen       // 000000006CF4: E05C1000 80861038
	v_mfma_scale_f32_16x16x128_f8f6f4 v[176:179], a[80:83], v[216:219], v[176:179], v39, v24 op_sel_hi:[0,0,0] cbsz:4 blgp:4// 000000006CFC: D3AC7000 00023127 D3AD0CB0 8EC3B150
	v_mfma_scale_f32_16x16x128_f8f6f4 v[148:151], a[84:87], v[208:211], v[148:151], v39, v24 op_sel_hi:[0,0,0] cbsz:4 blgp:4// 000000006D0C: D3AC6800 00023127 D3AD0C94 8E53A154
	buffer_load_dwordx4 a[20:23], v57, s[24:27], 0 offen       // 000000006D1C: E05C1000 80861439
	v_mfma_scale_f32_16x16x128_f8f6f4 v[180:183], a[84:87], v[216:219], v[180:183], v39, v24 op_sel_hi:[0,0,0] cbsz:4 blgp:4// 000000006D24: D3AC7800 00023127 D3AD0CB4 8ED3B154
	s_waitcnt vmcnt(18)                                        // 000000006D34: BF8C4F72
	v_mfma_scale_f32_16x16x128_f8f6f4 v[152:155], a[88:91], v[208:211], v[152:155], v40, v24 op_sel_hi:[0,0,0] cbsz:4 blgp:4// 000000006D38: D3AC6000 00023128 D3AD0C98 8E63A158
	buffer_load_dwordx4 a[24:27], v58, s[24:27], 0 offen       // 000000006D48: E05C1000 8086183A
	v_mfma_scale_f32_16x16x128_f8f6f4 v[184:187], a[88:91], v[216:219], v[184:187], v40, v24 op_sel_hi:[0,0,0] cbsz:4 blgp:4// 000000006D50: D3AC7000 00023128 D3AD0CB8 8EE3B158
	v_mfma_scale_f32_16x16x128_f8f6f4 v[156:159], a[92:95], v[208:211], v[156:159], v40, v24 op_sel_hi:[0,0,0] cbsz:4 blgp:4// 000000006D60: D3AC6800 00023128 D3AD0C9C 8E73A15C
	buffer_load_dwordx4 a[28:31], v59, s[24:27], 0 offen       // 000000006D70: E05C1000 80861C3B
	v_mfma_scale_f32_16x16x128_f8f6f4 v[188:191], a[92:95], v[216:219], v[188:191], v40, v24 op_sel_hi:[0,0,0] cbsz:4 blgp:4// 000000006D78: D3AC7800 00023128 D3AD0CBC 8EF3B15C
	s_waitcnt vmcnt(18)                                        // 000000006D88: BF8C4F72
	v_mfma_scale_f32_16x16x128_f8f6f4 v[128:131], a[96:99], v[212:215], v[128:131], v37, v24 op_sel_hi:[0,0,0] cbsz:4 blgp:4// 000000006D8C: D3AC6000 18023125 D3AD0C80 8E03A960
	buffer_load_dwordx4 a[32:35], v52, s[24:27], 0 offen offset:1024// 000000006D9C: E05C1400 80862034
	v_mfma_scale_f32_16x16x128_f8f6f4 v[160:163], a[96:99], v[220:223], v[160:163], v37, v24 op_sel_hi:[0,0,0] cbsz:4 blgp:4// 000000006DA4: D3AC7000 18023125 D3AD0CA0 8E83B960
	ds_read_b128 v[192:195], v6                                // 000000006DB4: D9FE0000 C0000006
	ds_read_b128 v[196:199], v6 offset:64                      // 000000006DBC: D9FE0040 C4000006
	v_mfma_scale_f32_16x16x128_f8f6f4 v[132:135], a[100:103], v[212:215], v[132:135], v37, v24 op_sel_hi:[0,0,0] cbsz:4 blgp:4// 000000006DC4: D3AC6800 18023125 D3AD0C84 8E13A964
	buffer_load_dwordx4 a[36:39], v53, s[24:27], 0 offen offset:1024// 000000006DD4: E05C1400 80862435
	v_mfma_scale_f32_16x16x128_f8f6f4 v[164:167], a[100:103], v[220:223], v[164:167], v37, v24 op_sel_hi:[0,0,0] cbsz:4 blgp:4// 000000006DDC: D3AC7800 18023125 D3AD0CA4 8E93B964
	ds_read_b128 v[200:203], v6 offset:512                     // 000000006DEC: D9FE0200 C8000006
	ds_read_b128 v[204:207], v6 offset:576                     // 000000006DF4: D9FE0240 CC000006
	s_waitcnt vmcnt(18)                                        // 000000006DFC: BF8C4F72
	v_mfma_scale_f32_16x16x128_f8f6f4 v[136:139], a[104:107], v[212:215], v[136:139], v38, v24 op_sel_hi:[0,0,0] cbsz:4 blgp:4// 000000006E00: D3AC6000 18023126 D3AD0C88 8E23A968
	buffer_load_dwordx4 a[40:43], v54, s[24:27], 0 offen offset:1024// 000000006E10: E05C1400 80862836
	v_mfma_scale_f32_16x16x128_f8f6f4 v[168:171], a[104:107], v[220:223], v[168:171], v38, v24 op_sel_hi:[0,0,0] cbsz:4 blgp:4// 000000006E18: D3AC7000 18023126 D3AD0CA8 8EA3B968
	v_mfma_scale_f32_16x16x128_f8f6f4 v[140:143], a[108:111], v[212:215], v[140:143], v38, v24 op_sel_hi:[0,0,0] cbsz:4 blgp:4// 000000006E28: D3AC6800 18023126 D3AD0C8C 8E33A96C
	buffer_load_dwordx4 a[44:47], v55, s[24:27], 0 offen offset:1024// 000000006E38: E05C1400 80862C37
	v_mfma_scale_f32_16x16x128_f8f6f4 v[172:175], a[108:111], v[220:223], v[172:175], v38, v24 op_sel_hi:[0,0,0] cbsz:4 blgp:4// 000000006E40: D3AC7800 18023126 D3AD0CAC 8EB3B96C
	s_waitcnt vmcnt(18)                                        // 000000006E50: BF8C4F72
	v_mfma_scale_f32_16x16x128_f8f6f4 v[144:147], a[112:115], v[212:215], v[144:147], v39, v24 op_sel_hi:[0,0,0] cbsz:4 blgp:4// 000000006E54: D3AC6000 18023127 D3AD0C90 8E43A970
	buffer_load_dwordx4 a[48:51], v56, s[24:27], 0 offen offset:1024// 000000006E64: E05C1400 80863038
	v_mfma_scale_f32_16x16x128_f8f6f4 v[176:179], a[112:115], v[220:223], v[176:179], v39, v24 op_sel_hi:[0,0,0] cbsz:4 blgp:4// 000000006E6C: D3AC7000 18023127 D3AD0CB0 8EC3B970
	v_mfma_scale_f32_16x16x128_f8f6f4 v[148:151], a[116:119], v[212:215], v[148:151], v39, v24 op_sel_hi:[0,0,0] cbsz:4 blgp:4// 000000006E7C: D3AC6800 18023127 D3AD0C94 8E53A974
	buffer_load_dwordx4 a[52:55], v57, s[24:27], 0 offen offset:1024// 000000006E8C: E05C1400 80863439
	v_mfma_scale_f32_16x16x128_f8f6f4 v[180:183], a[116:119], v[220:223], v[180:183], v39, v24 op_sel_hi:[0,0,0] cbsz:4 blgp:4// 000000006E94: D3AC7800 18023127 D3AD0CB4 8ED3B974
	s_waitcnt vmcnt(18)                                        // 000000006EA4: BF8C4F72
	v_mfma_scale_f32_16x16x128_f8f6f4 v[152:155], a[120:123], v[212:215], v[152:155], v40, v24 op_sel_hi:[0,0,0] cbsz:4 blgp:4// 000000006EA8: D3AC6000 18023128 D3AD0C98 8E63A978
	buffer_load_dwordx4 a[56:59], v58, s[24:27], 0 offen offset:1024// 000000006EB8: E05C1400 8086383A
	v_mfma_scale_f32_16x16x128_f8f6f4 v[184:187], a[120:123], v[220:223], v[184:187], v40, v24 op_sel_hi:[0,0,0] cbsz:4 blgp:4// 000000006EC0: D3AC7000 18023128 D3AD0CB8 8EE3B978
	v_mfma_scale_f32_16x16x128_f8f6f4 v[156:159], a[124:127], v[212:215], v[156:159], v40, v24 op_sel_hi:[0,0,0] cbsz:4 blgp:4// 000000006ED0: D3AC6800 18023128 D3AD0C9C 8E73A97C
	buffer_load_dwordx4 a[60:63], v59, s[24:27], 0 offen offset:1024// 000000006EE0: E05C1400 80863C3B
	v_mfma_scale_f32_16x16x128_f8f6f4 v[188:191], a[124:127], v[220:223], v[188:191], v40, v24 op_sel_hi:[0,0,0] cbsz:4 blgp:4// 000000006EE8: D3AC7800 18023128 D3AD0CBC 8EF3B97C
	s_add_u32 s60, 0x200, s80                                  // 000000006EF8: 803C50FF 00000200
	s_cmp_lt_u32 s60, s81                                      // 000000006F00: BF0A513C
	s_cselect_b32 s57, s57, 0                                  // 000000006F04: 85398039
	s_cselect_b32 s3, s3, 0                                    // 000000006F08: 85038003
	s_add_u32 s60, 0x200, s80                                  // 000000006F0C: 803C50FF 00000200
	s_cmp_lt_u32 s60, s81                                      // 000000006F14: BF0A513C
	s_cselect_b32 s58, s58, 0                                  // 000000006F18: 853A803A
	s_add_u32 s20, s57, s20                                    // 000000006F1C: 80141439
	s_addc_u32 s21, 0, s21                                     // 000000006F20: 82151580
	s_add_u32 s28, s3, s28                                     // 000000006F24: 801C1C03
	s_addc_u32 s29, 0, s29                                     // 000000006F28: 821D1D80
	s_add_u32 s24, s58, s24                                    // 000000006F2C: 8018183A
	s_addc_u32 s25, 0, s25                                     // 000000006F30: 82191980
	s_add_u32 s92, s90, s92                                    // 000000006F34: 805C5C5A
	s_addc_u32 s93, 0, s93                                     // 000000006F38: 825D5D80
	s_addk_i32 s80, 0x100                                      // 000000006F3C: B7500100
	s_cmp_lt_i32 s80, s81                                      // 000000006F40: BF045150
	s_cbranch_scc0 label_1113                                  // 000000006F44: BF840001
	s_branch label_0DFE                                        // 000000006F48: BF82FCEB

0000000000006f4c <label_1113>:
	s_mov_b32 s20, 0                                           // 000000006F4C: BE940080
	s_cmp_lt_u32 s89, s66                                      // 000000006F50: BF0A4259
	s_cselect_b32 s60, 0, 1                                    // 000000006F54: 853C8180
	s_lshl1_add_u32 s20, s20, s60                              // 000000006F58: 97143C14
	s_cmp_lt_u32 s88, s66                                      // 000000006F5C: BF0A4258
	s_cselect_b32 s60, 0, 1                                    // 000000006F60: 853C8180
	s_lshl1_add_u32 s20, s20, s60                              // 000000006F64: 97143C14
	s_cmp_lt_u32 s87, s66                                      // 000000006F68: BF0A4257
	s_cselect_b32 s60, 0, 1                                    // 000000006F6C: 853C8180
	s_lshl1_add_u32 s20, s20, s60                              // 000000006F70: 97143C14
	s_cmp_lt_u32 s86, s66                                      // 000000006F74: BF0A4256
	s_cselect_b32 s60, 0, 1                                    // 000000006F78: 853C8180
	s_lshl1_add_u32 s20, s20, s60                              // 000000006F7C: 97143C14
	s_cmp_lt_u32 s85, s66                                      // 000000006F80: BF0A4255
	s_cselect_b32 s60, 0, 1                                    // 000000006F84: 853C8180
	s_lshl1_add_u32 s20, s20, s60                              // 000000006F88: 97143C14
	s_cmp_lt_u32 s84, s66                                      // 000000006F8C: BF0A4254
	s_cselect_b32 s60, 0, 1                                    // 000000006F90: 853C8180
	s_lshl1_add_u32 s20, s20, s60                              // 000000006F94: 97143C14
	s_cmp_lt_u32 s83, s66                                      // 000000006F98: BF0A4253
	s_cselect_b32 s60, 0, 1                                    // 000000006F9C: 853C8180
	s_lshl1_add_u32 s20, s20, s60                              // 000000006FA0: 97143C14
	s_cmp_lt_u32 s82, s66                                      // 000000006FA4: BF0A4252
	s_cselect_b32 s60, 0, 1                                    // 000000006FA8: 853C8180
	s_lshl1_add_u32 s20, s20, s60                              // 000000006FAC: 97143C14
	v_mov_b32_e32 v1, 0xbfcc4231                               // 000000006FB0: 7E0202FF BFCC4231
	s_waitcnt vmcnt(14)                                        // 000000006FB8: BF8C0F7E
	buffer_load_dwordx4 a[0:3], v60, s[12:15], 0 offen         // 000000006FBC: E05C1000 8083003C
	v_mul_f32_e64 v2, -v64, s6                                 // 000000006FC4: D1050002 20000D40
	v_mul_f32_e64 v3, -v65, s6                                 // 000000006FCC: D1050003 20000D41
	v_mul_f32_e64 v4, -v66, s6                                 // 000000006FD4: D1050004 20000D42
	v_mul_f32_e64 v5, -v67, s6                                 // 000000006FDC: D1050005 20000D43
	v_exp_f32_e32 v2, v2                                       // 000000006FE4: 7E044102
	v_exp_f32_e32 v3, v3                                       // 000000006FE8: 7E064103
	v_exp_f32_e32 v4, v4                                       // 000000006FEC: 7E084104
	v_exp_f32_e32 v5, v5                                       // 000000006FF0: 7E0A4105
	buffer_load_dwordx4 a[4:7], v61, s[12:15], 0 offen         // 000000006FF4: E05C1000 8083043D
	v_add_f32_e64 v2, v2, 1.0                                  // 000000006FFC: D1010002 0001E502
	v_add_f32_e64 v3, v3, 1.0                                  // 000000007004: D1010003 0001E503
	v_add_f32_e64 v4, v4, 1.0                                  // 00000000700C: D1010004 0001E504
	v_add_f32_e64 v5, v5, 1.0                                  // 000000007014: D1010005 0001E505
	v_rcp_f32_e32 v2, v2                                       // 00000000701C: 7E044502
	v_rcp_f32_e32 v3, v3                                       // 000000007020: 7E064503
	v_rcp_f32_e32 v4, v4                                       // 000000007024: 7E084504
	v_rcp_f32_e32 v5, v5                                       // 000000007028: 7E0A4505
	v_mul_f32_e32 v64, v64, v2                                 // 00000000702C: 0A800540
	v_mul_f32_e32 v65, v65, v3                                 // 000000007030: 0A820741
	v_mul_f32_e32 v66, v66, v4                                 // 000000007034: 0A840942
	v_mul_f32_e32 v67, v67, v5                                 // 000000007038: 0A860B43
	v_mul_f32_e32 v64, v64, v128                               // 00000000703C: 0A810140
	v_mul_f32_e32 v65, v65, v129                               // 000000007040: 0A830341
	v_mul_f32_e32 v66, v66, v130                               // 000000007044: 0A850542
	v_mul_f32_e32 v67, v67, v131                               // 000000007048: 0A870743
	s_waitcnt vmcnt(14)                                        // 00000000704C: BF8C0F7E
	buffer_load_dwordx4 a[8:11], v62, s[12:15], 0 offen        // 000000007050: E05C1000 8083083E
	v_mul_f32_e64 v2, -v68, s6                                 // 000000007058: D1050002 20000D44
	v_mul_f32_e64 v3, -v69, s6                                 // 000000007060: D1050003 20000D45
	v_mul_f32_e64 v4, -v70, s6                                 // 000000007068: D1050004 20000D46
	v_mul_f32_e64 v5, -v71, s6                                 // 000000007070: D1050005 20000D47
	v_exp_f32_e32 v2, v2                                       // 000000007078: 7E044102
	v_exp_f32_e32 v3, v3                                       // 00000000707C: 7E064103
	v_exp_f32_e32 v4, v4                                       // 000000007080: 7E084104
	v_exp_f32_e32 v5, v5                                       // 000000007084: 7E0A4105
	buffer_load_dwordx4 a[12:15], v63, s[12:15], 0 offen       // 000000007088: E05C1000 80830C3F
	v_add_f32_e64 v2, v2, 1.0                                  // 000000007090: D1010002 0001E502
	v_add_f32_e64 v3, v3, 1.0                                  // 000000007098: D1010003 0001E503
	v_add_f32_e64 v4, v4, 1.0                                  // 0000000070A0: D1010004 0001E504
	v_add_f32_e64 v5, v5, 1.0                                  // 0000000070A8: D1010005 0001E505
	v_rcp_f32_e32 v2, v2                                       // 0000000070B0: 7E044502
	v_rcp_f32_e32 v3, v3                                       // 0000000070B4: 7E064503
	v_rcp_f32_e32 v4, v4                                       // 0000000070B8: 7E084504
	v_rcp_f32_e32 v5, v5                                       // 0000000070BC: 7E0A4505
	v_mul_f32_e32 v68, v68, v2                                 // 0000000070C0: 0A880544
	v_mul_f32_e32 v69, v69, v3                                 // 0000000070C4: 0A8A0745
	v_mul_f32_e32 v70, v70, v4                                 // 0000000070C8: 0A8C0946
	v_mul_f32_e32 v71, v71, v5                                 // 0000000070CC: 0A8E0B47
	v_mul_f32_e32 v68, v68, v132                               // 0000000070D0: 0A890944
	v_mul_f32_e32 v69, v69, v133                               // 0000000070D4: 0A8B0B45
	v_mul_f32_e32 v70, v70, v134                               // 0000000070D8: 0A8D0D46
	v_mul_f32_e32 v71, v71, v135                               // 0000000070DC: 0A8F0F47
	s_waitcnt vmcnt(14)                                        // 0000000070E0: BF8C0F7E
	buffer_load_dwordx4 a[16:19], v60, s[12:15], 0 offen offset:1024// 0000000070E4: E05C1400 8083103C
	v_mul_f32_e64 v2, -v72, s6                                 // 0000000070EC: D1050002 20000D48
	v_mul_f32_e64 v3, -v73, s6                                 // 0000000070F4: D1050003 20000D49
	v_mul_f32_e64 v4, -v74, s6                                 // 0000000070FC: D1050004 20000D4A
	v_mul_f32_e64 v5, -v75, s6                                 // 000000007104: D1050005 20000D4B
	v_exp_f32_e32 v2, v2                                       // 00000000710C: 7E044102
	v_exp_f32_e32 v3, v3                                       // 000000007110: 7E064103
	v_exp_f32_e32 v4, v4                                       // 000000007114: 7E084104
	v_exp_f32_e32 v5, v5                                       // 000000007118: 7E0A4105
	buffer_load_dwordx4 a[20:23], v61, s[12:15], 0 offen offset:1024// 00000000711C: E05C1400 8083143D
	v_add_f32_e64 v2, v2, 1.0                                  // 000000007124: D1010002 0001E502
	v_add_f32_e64 v3, v3, 1.0                                  // 00000000712C: D1010003 0001E503
	v_add_f32_e64 v4, v4, 1.0                                  // 000000007134: D1010004 0001E504
	v_add_f32_e64 v5, v5, 1.0                                  // 00000000713C: D1010005 0001E505
	v_rcp_f32_e32 v2, v2                                       // 000000007144: 7E044502
	v_rcp_f32_e32 v3, v3                                       // 000000007148: 7E064503
	v_rcp_f32_e32 v4, v4                                       // 00000000714C: 7E084504
	v_rcp_f32_e32 v5, v5                                       // 000000007150: 7E0A4505
	v_mul_f32_e32 v72, v72, v2                                 // 000000007154: 0A900548
	v_mul_f32_e32 v73, v73, v3                                 // 000000007158: 0A920749
	v_mul_f32_e32 v74, v74, v4                                 // 00000000715C: 0A94094A
	v_mul_f32_e32 v75, v75, v5                                 // 000000007160: 0A960B4B
	v_mul_f32_e32 v72, v72, v136                               // 000000007164: 0A911148
	v_mul_f32_e32 v73, v73, v137                               // 000000007168: 0A931349
	v_mul_f32_e32 v74, v74, v138                               // 00000000716C: 0A95154A
	v_mul_f32_e32 v75, v75, v139                               // 000000007170: 0A97174B
	s_waitcnt vmcnt(14)                                        // 000000007174: BF8C0F7E
	buffer_load_dwordx4 a[24:27], v62, s[12:15], 0 offen offset:1024// 000000007178: E05C1400 8083183E
	v_mul_f32_e64 v2, -v76, s6                                 // 000000007180: D1050002 20000D4C
	v_mul_f32_e64 v3, -v77, s6                                 // 000000007188: D1050003 20000D4D
	v_mul_f32_e64 v4, -v78, s6                                 // 000000007190: D1050004 20000D4E
	v_mul_f32_e64 v5, -v79, s6                                 // 000000007198: D1050005 20000D4F
	v_exp_f32_e32 v2, v2                                       // 0000000071A0: 7E044102
	v_exp_f32_e32 v3, v3                                       // 0000000071A4: 7E064103
	v_exp_f32_e32 v4, v4                                       // 0000000071A8: 7E084104
	v_exp_f32_e32 v5, v5                                       // 0000000071AC: 7E0A4105
	buffer_load_dwordx4 a[28:31], v63, s[12:15], 0 offen offset:1024// 0000000071B0: E05C1400 80831C3F
	v_add_f32_e64 v2, v2, 1.0                                  // 0000000071B8: D1010002 0001E502
	v_add_f32_e64 v3, v3, 1.0                                  // 0000000071C0: D1010003 0001E503
	v_add_f32_e64 v4, v4, 1.0                                  // 0000000071C8: D1010004 0001E504
	v_add_f32_e64 v5, v5, 1.0                                  // 0000000071D0: D1010005 0001E505
	v_rcp_f32_e32 v2, v2                                       // 0000000071D8: 7E044502
	v_rcp_f32_e32 v3, v3                                       // 0000000071DC: 7E064503
	v_rcp_f32_e32 v4, v4                                       // 0000000071E0: 7E084504
	v_rcp_f32_e32 v5, v5                                       // 0000000071E4: 7E0A4505
	v_mul_f32_e32 v76, v76, v2                                 // 0000000071E8: 0A98054C
	v_mul_f32_e32 v77, v77, v3                                 // 0000000071EC: 0A9A074D
	v_mul_f32_e32 v78, v78, v4                                 // 0000000071F0: 0A9C094E
	v_mul_f32_e32 v79, v79, v5                                 // 0000000071F4: 0A9E0B4F
	v_mul_f32_e32 v76, v76, v140                               // 0000000071F8: 0A99194C
	v_mul_f32_e32 v77, v77, v141                               // 0000000071FC: 0A9B1B4D
	v_mul_f32_e32 v78, v78, v142                               // 000000007200: 0A9D1D4E
	v_mul_f32_e32 v79, v79, v143                               // 000000007204: 0A9F1F4F
	s_waitcnt vmcnt(14)                                        // 000000007208: BF8C0F7E
	buffer_load_dwordx4 a[32:35], v60, s[12:15], 0 offen offset:2048// 00000000720C: E05C1800 8083203C
	v_mul_f32_e64 v2, -v80, s6                                 // 000000007214: D1050002 20000D50
	v_mul_f32_e64 v3, -v81, s6                                 // 00000000721C: D1050003 20000D51
	v_mul_f32_e64 v4, -v82, s6                                 // 000000007224: D1050004 20000D52
	v_mul_f32_e64 v5, -v83, s6                                 // 00000000722C: D1050005 20000D53
	v_exp_f32_e32 v2, v2                                       // 000000007234: 7E044102
	v_exp_f32_e32 v3, v3                                       // 000000007238: 7E064103
	v_exp_f32_e32 v4, v4                                       // 00000000723C: 7E084104
	v_exp_f32_e32 v5, v5                                       // 000000007240: 7E0A4105
	buffer_load_dwordx4 a[36:39], v61, s[12:15], 0 offen offset:2048// 000000007244: E05C1800 8083243D
	v_add_f32_e64 v2, v2, 1.0                                  // 00000000724C: D1010002 0001E502
	v_add_f32_e64 v3, v3, 1.0                                  // 000000007254: D1010003 0001E503
	v_add_f32_e64 v4, v4, 1.0                                  // 00000000725C: D1010004 0001E504
	v_add_f32_e64 v5, v5, 1.0                                  // 000000007264: D1010005 0001E505
	v_rcp_f32_e32 v2, v2                                       // 00000000726C: 7E044502
	v_rcp_f32_e32 v3, v3                                       // 000000007270: 7E064503
	v_rcp_f32_e32 v4, v4                                       // 000000007274: 7E084504
	v_rcp_f32_e32 v5, v5                                       // 000000007278: 7E0A4505
	v_mul_f32_e32 v80, v80, v2                                 // 00000000727C: 0AA00550
	v_mul_f32_e32 v81, v81, v3                                 // 000000007280: 0AA20751
	v_mul_f32_e32 v82, v82, v4                                 // 000000007284: 0AA40952
	v_mul_f32_e32 v83, v83, v5                                 // 000000007288: 0AA60B53
	v_mul_f32_e32 v80, v80, v144                               // 00000000728C: 0AA12150
	v_mul_f32_e32 v81, v81, v145                               // 000000007290: 0AA32351
	v_mul_f32_e32 v82, v82, v146                               // 000000007294: 0AA52552
	v_mul_f32_e32 v83, v83, v147                               // 000000007298: 0AA72753
	s_waitcnt vmcnt(14)                                        // 00000000729C: BF8C0F7E
	buffer_load_dwordx4 a[40:43], v62, s[12:15], 0 offen offset:2048// 0000000072A0: E05C1800 8083283E
	v_mul_f32_e64 v2, -v84, s6                                 // 0000000072A8: D1050002 20000D54
	v_mul_f32_e64 v3, -v85, s6                                 // 0000000072B0: D1050003 20000D55
	v_mul_f32_e64 v4, -v86, s6                                 // 0000000072B8: D1050004 20000D56
	v_mul_f32_e64 v5, -v87, s6                                 // 0000000072C0: D1050005 20000D57
	v_exp_f32_e32 v2, v2                                       // 0000000072C8: 7E044102
	v_exp_f32_e32 v3, v3                                       // 0000000072CC: 7E064103
	v_exp_f32_e32 v4, v4                                       // 0000000072D0: 7E084104
	v_exp_f32_e32 v5, v5                                       // 0000000072D4: 7E0A4105
	buffer_load_dwordx4 a[44:47], v63, s[12:15], 0 offen offset:2048// 0000000072D8: E05C1800 80832C3F
	v_add_f32_e64 v2, v2, 1.0                                  // 0000000072E0: D1010002 0001E502
	v_add_f32_e64 v3, v3, 1.0                                  // 0000000072E8: D1010003 0001E503
	v_add_f32_e64 v4, v4, 1.0                                  // 0000000072F0: D1010004 0001E504
	v_add_f32_e64 v5, v5, 1.0                                  // 0000000072F8: D1010005 0001E505
	v_rcp_f32_e32 v2, v2                                       // 000000007300: 7E044502
	v_rcp_f32_e32 v3, v3                                       // 000000007304: 7E064503
	v_rcp_f32_e32 v4, v4                                       // 000000007308: 7E084504
	v_rcp_f32_e32 v5, v5                                       // 00000000730C: 7E0A4505
	v_mul_f32_e32 v84, v84, v2                                 // 000000007310: 0AA80554
	v_mul_f32_e32 v85, v85, v3                                 // 000000007314: 0AAA0755
	v_mul_f32_e32 v86, v86, v4                                 // 000000007318: 0AAC0956
	v_mul_f32_e32 v87, v87, v5                                 // 00000000731C: 0AAE0B57
	v_mul_f32_e32 v84, v84, v148                               // 000000007320: 0AA92954
	v_mul_f32_e32 v85, v85, v149                               // 000000007324: 0AAB2B55
	v_mul_f32_e32 v86, v86, v150                               // 000000007328: 0AAD2D56
	v_mul_f32_e32 v87, v87, v151                               // 00000000732C: 0AAF2F57
	s_waitcnt vmcnt(14)                                        // 000000007330: BF8C0F7E
	buffer_load_dwordx4 a[48:51], v60, s[12:15], 0 offen offset:3072// 000000007334: E05C1C00 8083303C
	v_mul_f32_e64 v2, -v88, s6                                 // 00000000733C: D1050002 20000D58
	v_mul_f32_e64 v3, -v89, s6                                 // 000000007344: D1050003 20000D59
	v_mul_f32_e64 v4, -v90, s6                                 // 00000000734C: D1050004 20000D5A
	v_mul_f32_e64 v5, -v91, s6                                 // 000000007354: D1050005 20000D5B
	v_exp_f32_e32 v2, v2                                       // 00000000735C: 7E044102
	v_exp_f32_e32 v3, v3                                       // 000000007360: 7E064103
	v_exp_f32_e32 v4, v4                                       // 000000007364: 7E084104
	v_exp_f32_e32 v5, v5                                       // 000000007368: 7E0A4105
	buffer_load_dwordx4 a[52:55], v61, s[12:15], 0 offen offset:3072// 00000000736C: E05C1C00 8083343D
	v_add_f32_e64 v2, v2, 1.0                                  // 000000007374: D1010002 0001E502
	v_add_f32_e64 v3, v3, 1.0                                  // 00000000737C: D1010003 0001E503
	v_add_f32_e64 v4, v4, 1.0                                  // 000000007384: D1010004 0001E504
	v_add_f32_e64 v5, v5, 1.0                                  // 00000000738C: D1010005 0001E505
	v_rcp_f32_e32 v2, v2                                       // 000000007394: 7E044502
	v_rcp_f32_e32 v3, v3                                       // 000000007398: 7E064503
	v_rcp_f32_e32 v4, v4                                       // 00000000739C: 7E084504
	v_rcp_f32_e32 v5, v5                                       // 0000000073A0: 7E0A4505
	v_mul_f32_e32 v88, v88, v2                                 // 0000000073A4: 0AB00558
	v_mul_f32_e32 v89, v89, v3                                 // 0000000073A8: 0AB20759
	v_mul_f32_e32 v90, v90, v4                                 // 0000000073AC: 0AB4095A
	v_mul_f32_e32 v91, v91, v5                                 // 0000000073B0: 0AB60B5B
	v_mul_f32_e32 v88, v88, v152                               // 0000000073B4: 0AB13158
	v_mul_f32_e32 v89, v89, v153                               // 0000000073B8: 0AB33359
	v_mul_f32_e32 v90, v90, v154                               // 0000000073BC: 0AB5355A
	v_mul_f32_e32 v91, v91, v155                               // 0000000073C0: 0AB7375B
	s_waitcnt vmcnt(14)                                        // 0000000073C4: BF8C0F7E
	buffer_load_dwordx4 a[56:59], v62, s[12:15], 0 offen offset:3072// 0000000073C8: E05C1C00 8083383E
	v_mul_f32_e64 v2, -v92, s6                                 // 0000000073D0: D1050002 20000D5C
	v_mul_f32_e64 v3, -v93, s6                                 // 0000000073D8: D1050003 20000D5D
	v_mul_f32_e64 v4, -v94, s6                                 // 0000000073E0: D1050004 20000D5E
	v_mul_f32_e64 v5, -v95, s6                                 // 0000000073E8: D1050005 20000D5F
	v_exp_f32_e32 v2, v2                                       // 0000000073F0: 7E044102
	v_exp_f32_e32 v3, v3                                       // 0000000073F4: 7E064103
	v_exp_f32_e32 v4, v4                                       // 0000000073F8: 7E084104
	v_exp_f32_e32 v5, v5                                       // 0000000073FC: 7E0A4105
	buffer_load_dwordx4 a[60:63], v63, s[12:15], 0 offen offset:3072// 000000007400: E05C1C00 80833C3F
	v_add_f32_e64 v2, v2, 1.0                                  // 000000007408: D1010002 0001E502
	v_add_f32_e64 v3, v3, 1.0                                  // 000000007410: D1010003 0001E503
	v_add_f32_e64 v4, v4, 1.0                                  // 000000007418: D1010004 0001E504
	v_add_f32_e64 v5, v5, 1.0                                  // 000000007420: D1010005 0001E505
	v_rcp_f32_e32 v2, v2                                       // 000000007428: 7E044502
	v_rcp_f32_e32 v3, v3                                       // 00000000742C: 7E064503
	v_rcp_f32_e32 v4, v4                                       // 000000007430: 7E084504
	v_rcp_f32_e32 v5, v5                                       // 000000007434: 7E0A4505
	v_mul_f32_e32 v92, v92, v2                                 // 000000007438: 0AB8055C
	v_mul_f32_e32 v93, v93, v3                                 // 00000000743C: 0ABA075D
	v_mul_f32_e32 v94, v94, v4                                 // 000000007440: 0ABC095E
	v_mul_f32_e32 v95, v95, v5                                 // 000000007444: 0ABE0B5F
	v_mul_f32_e32 v92, v92, v156                               // 000000007448: 0AB9395C
	v_mul_f32_e32 v93, v93, v157                               // 00000000744C: 0ABB3B5D
	v_mul_f32_e32 v94, v94, v158                               // 000000007450: 0ABD3D5E
	v_mul_f32_e32 v95, v95, v159                               // 000000007454: 0ABF3F5F
	s_waitcnt vmcnt(14)                                        // 000000007458: BF8C0F7E
	v_mul_f32_e64 v2, -v96, s6                                 // 00000000745C: D1050002 20000D60
	v_mul_f32_e64 v3, -v97, s6                                 // 000000007464: D1050003 20000D61
	v_mul_f32_e64 v4, -v98, s6                                 // 00000000746C: D1050004 20000D62
	v_mul_f32_e64 v5, -v99, s6                                 // 000000007474: D1050005 20000D63
	v_exp_f32_e32 v2, v2                                       // 00000000747C: 7E044102
	v_exp_f32_e32 v3, v3                                       // 000000007480: 7E064103
	v_exp_f32_e32 v4, v4                                       // 000000007484: 7E084104
	v_exp_f32_e32 v5, v5                                       // 000000007488: 7E0A4105
	v_add_f32_e64 v2, v2, 1.0                                  // 00000000748C: D1010002 0001E502
	v_add_f32_e64 v3, v3, 1.0                                  // 000000007494: D1010003 0001E503
	v_add_f32_e64 v4, v4, 1.0                                  // 00000000749C: D1010004 0001E504
	v_add_f32_e64 v5, v5, 1.0                                  // 0000000074A4: D1010005 0001E505
	v_rcp_f32_e32 v2, v2                                       // 0000000074AC: 7E044502
	v_rcp_f32_e32 v3, v3                                       // 0000000074B0: 7E064503
	v_rcp_f32_e32 v4, v4                                       // 0000000074B4: 7E084504
	v_rcp_f32_e32 v5, v5                                       // 0000000074B8: 7E0A4505
	v_mul_f32_e32 v96, v96, v2                                 // 0000000074BC: 0AC00560
	v_mul_f32_e32 v97, v97, v3                                 // 0000000074C0: 0AC20761
	v_mul_f32_e32 v98, v98, v4                                 // 0000000074C4: 0AC40962
	v_mul_f32_e32 v99, v99, v5                                 // 0000000074C8: 0AC60B63
	v_mul_f32_e32 v96, v96, v160                               // 0000000074CC: 0AC14160
	v_mul_f32_e32 v97, v97, v161                               // 0000000074D0: 0AC34361
	v_mul_f32_e32 v98, v98, v162                               // 0000000074D4: 0AC54562
	v_mul_f32_e32 v99, v99, v163                               // 0000000074D8: 0AC74763
	s_waitcnt vmcnt(14)                                        // 0000000074DC: BF8C0F7E
	v_mul_f32_e64 v2, -v100, s6                                // 0000000074E0: D1050002 20000D64
	v_mul_f32_e64 v3, -v101, s6                                // 0000000074E8: D1050003 20000D65
	v_mul_f32_e64 v4, -v102, s6                                // 0000000074F0: D1050004 20000D66
	v_mul_f32_e64 v5, -v103, s6                                // 0000000074F8: D1050005 20000D67
	v_exp_f32_e32 v2, v2                                       // 000000007500: 7E044102
	v_exp_f32_e32 v3, v3                                       // 000000007504: 7E064103
	v_exp_f32_e32 v4, v4                                       // 000000007508: 7E084104
	v_exp_f32_e32 v5, v5                                       // 00000000750C: 7E0A4105
	v_add_f32_e64 v2, v2, 1.0                                  // 000000007510: D1010002 0001E502
	v_add_f32_e64 v3, v3, 1.0                                  // 000000007518: D1010003 0001E503
	v_add_f32_e64 v4, v4, 1.0                                  // 000000007520: D1010004 0001E504
	v_add_f32_e64 v5, v5, 1.0                                  // 000000007528: D1010005 0001E505
	v_rcp_f32_e32 v2, v2                                       // 000000007530: 7E044502
	v_rcp_f32_e32 v3, v3                                       // 000000007534: 7E064503
	v_rcp_f32_e32 v4, v4                                       // 000000007538: 7E084504
	v_rcp_f32_e32 v5, v5                                       // 00000000753C: 7E0A4505
	v_mul_f32_e32 v100, v100, v2                               // 000000007540: 0AC80564
	v_mul_f32_e32 v101, v101, v3                               // 000000007544: 0ACA0765
	v_mul_f32_e32 v102, v102, v4                               // 000000007548: 0ACC0966
	v_mul_f32_e32 v103, v103, v5                               // 00000000754C: 0ACE0B67
	v_mul_f32_e32 v100, v100, v164                             // 000000007550: 0AC94964
	v_mul_f32_e32 v101, v101, v165                             // 000000007554: 0ACB4B65
	v_mul_f32_e32 v102, v102, v166                             // 000000007558: 0ACD4D66
	v_mul_f32_e32 v103, v103, v167                             // 00000000755C: 0ACF4F67
	s_waitcnt vmcnt(14)                                        // 000000007560: BF8C0F7E
	v_mul_f32_e64 v2, -v104, s6                                // 000000007564: D1050002 20000D68
	v_mul_f32_e64 v3, -v105, s6                                // 00000000756C: D1050003 20000D69
	v_mul_f32_e64 v4, -v106, s6                                // 000000007574: D1050004 20000D6A
	v_mul_f32_e64 v5, -v107, s6                                // 00000000757C: D1050005 20000D6B
	v_exp_f32_e32 v2, v2                                       // 000000007584: 7E044102
	v_exp_f32_e32 v3, v3                                       // 000000007588: 7E064103
	v_exp_f32_e32 v4, v4                                       // 00000000758C: 7E084104
	v_exp_f32_e32 v5, v5                                       // 000000007590: 7E0A4105
	v_add_f32_e64 v2, v2, 1.0                                  // 000000007594: D1010002 0001E502
	v_add_f32_e64 v3, v3, 1.0                                  // 00000000759C: D1010003 0001E503
	v_add_f32_e64 v4, v4, 1.0                                  // 0000000075A4: D1010004 0001E504
	v_add_f32_e64 v5, v5, 1.0                                  // 0000000075AC: D1010005 0001E505
	v_rcp_f32_e32 v2, v2                                       // 0000000075B4: 7E044502
	v_rcp_f32_e32 v3, v3                                       // 0000000075B8: 7E064503
	v_rcp_f32_e32 v4, v4                                       // 0000000075BC: 7E084504
	v_rcp_f32_e32 v5, v5                                       // 0000000075C0: 7E0A4505
	v_mul_f32_e32 v104, v104, v2                               // 0000000075C4: 0AD00568
	v_mul_f32_e32 v105, v105, v3                               // 0000000075C8: 0AD20769
	v_mul_f32_e32 v106, v106, v4                               // 0000000075CC: 0AD4096A
	v_mul_f32_e32 v107, v107, v5                               // 0000000075D0: 0AD60B6B
	v_mul_f32_e32 v104, v104, v168                             // 0000000075D4: 0AD15168
	v_mul_f32_e32 v105, v105, v169                             // 0000000075D8: 0AD35369
	v_mul_f32_e32 v106, v106, v170                             // 0000000075DC: 0AD5556A
	v_mul_f32_e32 v107, v107, v171                             // 0000000075E0: 0AD7576B
	s_waitcnt vmcnt(14)                                        // 0000000075E4: BF8C0F7E
	v_mul_f32_e64 v2, -v108, s6                                // 0000000075E8: D1050002 20000D6C
	v_mul_f32_e64 v3, -v109, s6                                // 0000000075F0: D1050003 20000D6D
	v_mul_f32_e64 v4, -v110, s6                                // 0000000075F8: D1050004 20000D6E
	v_mul_f32_e64 v5, -v111, s6                                // 000000007600: D1050005 20000D6F
	v_exp_f32_e32 v2, v2                                       // 000000007608: 7E044102
	v_exp_f32_e32 v3, v3                                       // 00000000760C: 7E064103
	v_exp_f32_e32 v4, v4                                       // 000000007610: 7E084104
	v_exp_f32_e32 v5, v5                                       // 000000007614: 7E0A4105
	v_add_f32_e64 v2, v2, 1.0                                  // 000000007618: D1010002 0001E502
	v_add_f32_e64 v3, v3, 1.0                                  // 000000007620: D1010003 0001E503
	v_add_f32_e64 v4, v4, 1.0                                  // 000000007628: D1010004 0001E504
	v_add_f32_e64 v5, v5, 1.0                                  // 000000007630: D1010005 0001E505
	v_rcp_f32_e32 v2, v2                                       // 000000007638: 7E044502
	v_rcp_f32_e32 v3, v3                                       // 00000000763C: 7E064503
	v_rcp_f32_e32 v4, v4                                       // 000000007640: 7E084504
	v_rcp_f32_e32 v5, v5                                       // 000000007644: 7E0A4505
	v_mul_f32_e32 v108, v108, v2                               // 000000007648: 0AD8056C
	v_mul_f32_e32 v109, v109, v3                               // 00000000764C: 0ADA076D
	v_mul_f32_e32 v110, v110, v4                               // 000000007650: 0ADC096E
	v_mul_f32_e32 v111, v111, v5                               // 000000007654: 0ADE0B6F
	v_mul_f32_e32 v108, v108, v172                             // 000000007658: 0AD9596C
	v_mul_f32_e32 v109, v109, v173                             // 00000000765C: 0ADB5B6D
	v_mul_f32_e32 v110, v110, v174                             // 000000007660: 0ADD5D6E
	v_mul_f32_e32 v111, v111, v175                             // 000000007664: 0ADF5F6F
	s_waitcnt vmcnt(14)                                        // 000000007668: BF8C0F7E
	v_mul_f32_e64 v2, -v112, s6                                // 00000000766C: D1050002 20000D70
	v_mul_f32_e64 v3, -v113, s6                                // 000000007674: D1050003 20000D71
	v_mul_f32_e64 v4, -v114, s6                                // 00000000767C: D1050004 20000D72
	v_mul_f32_e64 v5, -v115, s6                                // 000000007684: D1050005 20000D73
	v_exp_f32_e32 v2, v2                                       // 00000000768C: 7E044102
	v_exp_f32_e32 v3, v3                                       // 000000007690: 7E064103
	v_exp_f32_e32 v4, v4                                       // 000000007694: 7E084104
	v_exp_f32_e32 v5, v5                                       // 000000007698: 7E0A4105
	v_add_f32_e64 v2, v2, 1.0                                  // 00000000769C: D1010002 0001E502
	v_add_f32_e64 v3, v3, 1.0                                  // 0000000076A4: D1010003 0001E503
	v_add_f32_e64 v4, v4, 1.0                                  // 0000000076AC: D1010004 0001E504
	v_add_f32_e64 v5, v5, 1.0                                  // 0000000076B4: D1010005 0001E505
	v_rcp_f32_e32 v2, v2                                       // 0000000076BC: 7E044502
	v_rcp_f32_e32 v3, v3                                       // 0000000076C0: 7E064503
	v_rcp_f32_e32 v4, v4                                       // 0000000076C4: 7E084504
	v_rcp_f32_e32 v5, v5                                       // 0000000076C8: 7E0A4505
	v_mul_f32_e32 v112, v112, v2                               // 0000000076CC: 0AE00570
	v_mul_f32_e32 v113, v113, v3                               // 0000000076D0: 0AE20771
	v_mul_f32_e32 v114, v114, v4                               // 0000000076D4: 0AE40972
	v_mul_f32_e32 v115, v115, v5                               // 0000000076D8: 0AE60B73
	v_mul_f32_e32 v112, v112, v176                             // 0000000076DC: 0AE16170
	v_mul_f32_e32 v113, v113, v177                             // 0000000076E0: 0AE36371
	v_mul_f32_e32 v114, v114, v178                             // 0000000076E4: 0AE56572
	v_mul_f32_e32 v115, v115, v179                             // 0000000076E8: 0AE76773
	s_waitcnt vmcnt(14)                                        // 0000000076EC: BF8C0F7E
	v_mul_f32_e64 v2, -v116, s6                                // 0000000076F0: D1050002 20000D74
	v_mul_f32_e64 v3, -v117, s6                                // 0000000076F8: D1050003 20000D75
	v_mul_f32_e64 v4, -v118, s6                                // 000000007700: D1050004 20000D76
	v_mul_f32_e64 v5, -v119, s6                                // 000000007708: D1050005 20000D77
	v_exp_f32_e32 v2, v2                                       // 000000007710: 7E044102
	v_exp_f32_e32 v3, v3                                       // 000000007714: 7E064103
	v_exp_f32_e32 v4, v4                                       // 000000007718: 7E084104
	v_exp_f32_e32 v5, v5                                       // 00000000771C: 7E0A4105
	v_add_f32_e64 v2, v2, 1.0                                  // 000000007720: D1010002 0001E502
	v_add_f32_e64 v3, v3, 1.0                                  // 000000007728: D1010003 0001E503
	v_add_f32_e64 v4, v4, 1.0                                  // 000000007730: D1010004 0001E504
	v_add_f32_e64 v5, v5, 1.0                                  // 000000007738: D1010005 0001E505
	v_rcp_f32_e32 v2, v2                                       // 000000007740: 7E044502
	v_rcp_f32_e32 v3, v3                                       // 000000007744: 7E064503
	v_rcp_f32_e32 v4, v4                                       // 000000007748: 7E084504
	v_rcp_f32_e32 v5, v5                                       // 00000000774C: 7E0A4505
	v_mul_f32_e32 v116, v116, v2                               // 000000007750: 0AE80574
	v_mul_f32_e32 v117, v117, v3                               // 000000007754: 0AEA0775
	v_mul_f32_e32 v118, v118, v4                               // 000000007758: 0AEC0976
	v_mul_f32_e32 v119, v119, v5                               // 00000000775C: 0AEE0B77
	v_mul_f32_e32 v116, v116, v180                             // 000000007760: 0AE96974
	v_mul_f32_e32 v117, v117, v181                             // 000000007764: 0AEB6B75
	v_mul_f32_e32 v118, v118, v182                             // 000000007768: 0AED6D76
	v_mul_f32_e32 v119, v119, v183                             // 00000000776C: 0AEF6F77
	s_waitcnt vmcnt(14)                                        // 000000007770: BF8C0F7E
	v_mul_f32_e64 v2, -v120, s6                                // 000000007774: D1050002 20000D78
	v_mul_f32_e64 v3, -v121, s6                                // 00000000777C: D1050003 20000D79
	v_mul_f32_e64 v4, -v122, s6                                // 000000007784: D1050004 20000D7A
	v_mul_f32_e64 v5, -v123, s6                                // 00000000778C: D1050005 20000D7B
	v_exp_f32_e32 v2, v2                                       // 000000007794: 7E044102
	v_exp_f32_e32 v3, v3                                       // 000000007798: 7E064103
	v_exp_f32_e32 v4, v4                                       // 00000000779C: 7E084104
	v_exp_f32_e32 v5, v5                                       // 0000000077A0: 7E0A4105
	v_add_f32_e64 v2, v2, 1.0                                  // 0000000077A4: D1010002 0001E502
	v_add_f32_e64 v3, v3, 1.0                                  // 0000000077AC: D1010003 0001E503
	v_add_f32_e64 v4, v4, 1.0                                  // 0000000077B4: D1010004 0001E504
	v_add_f32_e64 v5, v5, 1.0                                  // 0000000077BC: D1010005 0001E505
	v_rcp_f32_e32 v2, v2                                       // 0000000077C4: 7E044502
	v_rcp_f32_e32 v3, v3                                       // 0000000077C8: 7E064503
	v_rcp_f32_e32 v4, v4                                       // 0000000077CC: 7E084504
	v_rcp_f32_e32 v5, v5                                       // 0000000077D0: 7E0A4505
	v_mul_f32_e32 v120, v120, v2                               // 0000000077D4: 0AF00578
	v_mul_f32_e32 v121, v121, v3                               // 0000000077D8: 0AF20779
	v_mul_f32_e32 v122, v122, v4                               // 0000000077DC: 0AF4097A
	v_mul_f32_e32 v123, v123, v5                               // 0000000077E0: 0AF60B7B
	v_mul_f32_e32 v120, v120, v184                             // 0000000077E4: 0AF17178
	v_mul_f32_e32 v121, v121, v185                             // 0000000077E8: 0AF37379
	v_mul_f32_e32 v122, v122, v186                             // 0000000077EC: 0AF5757A
	v_mul_f32_e32 v123, v123, v187                             // 0000000077F0: 0AF7777B
	s_waitcnt vmcnt(14)                                        // 0000000077F4: BF8C0F7E
	v_mul_f32_e64 v2, -v124, s6                                // 0000000077F8: D1050002 20000D7C
	v_mul_f32_e64 v3, -v125, s6                                // 000000007800: D1050003 20000D7D
	v_mul_f32_e64 v4, -v126, s6                                // 000000007808: D1050004 20000D7E
	v_mul_f32_e64 v5, -v127, s6                                // 000000007810: D1050005 20000D7F
	v_exp_f32_e32 v2, v2                                       // 000000007818: 7E044102
	v_exp_f32_e32 v3, v3                                       // 00000000781C: 7E064103
	v_exp_f32_e32 v4, v4                                       // 000000007820: 7E084104
	v_exp_f32_e32 v5, v5                                       // 000000007824: 7E0A4105
	v_add_f32_e64 v2, v2, 1.0                                  // 000000007828: D1010002 0001E502
	v_add_f32_e64 v3, v3, 1.0                                  // 000000007830: D1010003 0001E503
	v_add_f32_e64 v4, v4, 1.0                                  // 000000007838: D1010004 0001E504
	v_add_f32_e64 v5, v5, 1.0                                  // 000000007840: D1010005 0001E505
	v_rcp_f32_e32 v2, v2                                       // 000000007848: 7E044502
	v_rcp_f32_e32 v3, v3                                       // 00000000784C: 7E064503
	v_rcp_f32_e32 v4, v4                                       // 000000007850: 7E084504
	v_rcp_f32_e32 v5, v5                                       // 000000007854: 7E0A4505
	v_mul_f32_e32 v124, v124, v2                               // 000000007858: 0AF8057C
	v_mul_f32_e32 v125, v125, v3                               // 00000000785C: 0AFA077D
	v_mul_f32_e32 v126, v126, v4                               // 000000007860: 0AFC097E
	v_mul_f32_e32 v127, v127, v5                               // 000000007864: 0AFE0B7F
	v_mul_f32_e32 v124, v124, v188                             // 000000007868: 0AF9797C
	v_mul_f32_e32 v125, v125, v189                             // 00000000786C: 0AFB7B7D
	v_mul_f32_e32 v126, v126, v190                             // 000000007870: 0AFD7D7E
	v_mul_f32_e32 v127, v127, v191                             // 000000007874: 0AFF7F7F
	v_lshlrev_b32_e32 v2, 2, v0                                // 000000007878: 24040082
	s_mul_i32 s60, s82, s71                                    // 00000000787C: 923C4752
	v_add_u32_e64 v144, v2, s60                                // 000000007880: D1340090 00007902
	v_mov_b32_e32 v145, 0                                      // 000000007888: 7F220280
	s_mul_i32 s60, s83, s71                                    // 00000000788C: 923C4753
	v_add_u32_e64 v146, v2, s60                                // 000000007890: D1340092 00007902
	v_mov_b32_e32 v147, 0                                      // 000000007898: 7F260280
	s_mul_i32 s60, s84, s71                                    // 00000000789C: 923C4754
	v_add_u32_e64 v148, v2, s60                                // 0000000078A0: D1340094 00007902
	v_mov_b32_e32 v149, 0                                      // 0000000078A8: 7F2A0280
	s_mul_i32 s60, s85, s71                                    // 0000000078AC: 923C4755
	v_add_u32_e64 v150, v2, s60                                // 0000000078B0: D1340096 00007902
	v_mov_b32_e32 v151, 0                                      // 0000000078B8: 7F2E0280
	s_mul_i32 s60, s86, s71                                    // 0000000078BC: 923C4756
	v_add_u32_e64 v152, v2, s60                                // 0000000078C0: D1340098 00007902
	v_mov_b32_e32 v153, 0                                      // 0000000078C8: 7F320280
	s_mul_i32 s60, s87, s71                                    // 0000000078CC: 923C4757
	v_add_u32_e64 v154, v2, s60                                // 0000000078D0: D134009A 00007902
	v_mov_b32_e32 v155, 0                                      // 0000000078D8: 7F360280
	s_mul_i32 s60, s88, s71                                    // 0000000078DC: 923C4758
	v_add_u32_e64 v156, v2, s60                                // 0000000078E0: D134009C 00007902
	v_mov_b32_e32 v157, 0                                      // 0000000078E8: 7F3A0280
	s_mul_i32 s60, s89, s71                                    // 0000000078EC: 923C4759
	v_add_u32_e64 v158, v2, s60                                // 0000000078F0: D134009E 00007902
	v_mov_b32_e32 v159, 0                                      // 0000000078F8: 7F3E0280
	buffer_load_dword v25, v10, s[16:19], 0 offen              // 0000000078FC: E0501000 8004190A
	buffer_load_dword v26, v11, s[16:19], 0 offen              // 000000007904: E0501000 80041A0B
	buffer_load_dword v27, v10, s[16:19], 0 offen offset:256   // 00000000790C: E0501100 80041B0A
	buffer_load_dword v28, v11, s[16:19], 0 offen offset:256   // 000000007914: E0501100 80041C0B
	v_mov_b32_e32 v43, 0x358637bd                              // 00000000791C: 7E5602FF 358637BD
	v_mov_b32_e32 v44, 0x358637bd                              // 000000007924: 7E5802FF 358637BD
	v_max3_f32 v43, |v64|, |v65|, v43                          // 00000000792C: D1D3032B 04AE8340
	v_max3_f32 v43, |v66|, |v67|, v43                          // 000000007934: D1D3032B 04AE8742
	v_max3_f32 v43, |v68|, |v69|, v43                          // 00000000793C: D1D3032B 04AE8B44
	v_max3_f32 v43, |v70|, |v71|, v43                          // 000000007944: D1D3032B 04AE8F46
	v_max3_f32 v44, |v96|, |v97|, v44                          // 00000000794C: D1D3032C 04B2C360
	v_max3_f32 v44, |v98|, |v99|, v44                          // 000000007954: D1D3032C 04B2C762
	v_max3_f32 v44, |v100|, |v101|, v44                        // 00000000795C: D1D3032C 04B2CB64
	v_max3_f32 v44, |v102|, |v103|, v44                        // 000000007964: D1D3032C 04B2CF66
	v_mov_b32_e32 v2, v43                                      // 00000000796C: 7E04032B
	s_nop 1                                                    // 000000007970: BF800001
	v_permlane32_swap_b32_e32 v2, v43                          // 000000007974: 7E04B52B
	v_max_f32_e32 v43, v2, v43                                 // 000000007978: 16565702
	v_mov_b32_e32 v2, v43                                      // 00000000797C: 7E04032B
	s_nop 1                                                    // 000000007980: BF800001
	v_permlane16_swap_b32_e32 v2, v43                          // 000000007984: 7E04B32B
	v_max_f32_e32 v43, v2, v43                                 // 000000007988: 16565702
	v_mov_b32_e32 v2, v44                                      // 00000000798C: 7E04032C
	s_nop 1                                                    // 000000007990: BF800001
	v_permlane32_swap_b32_e32 v2, v44                          // 000000007994: 7E04B52C
	v_max_f32_e32 v44, v2, v44                                 // 000000007998: 16585902
	v_mov_b32_e32 v2, v44                                      // 00000000799C: 7E04032C
	s_nop 1                                                    // 0000000079A0: BF800001
	v_permlane16_swap_b32_e32 v2, v44                          // 0000000079A4: 7E04B32C
	v_max_f32_e32 v44, v2, v44                                 // 0000000079A8: 16585902
	v_mov_b32_e32 v2, 0x3e800000                               // 0000000079AC: 7E0402FF 3E800000
	v_mul_f32_e32 v43, v2, v43                                 // 0000000079B4: 0A565702
	v_mul_f32_e32 v44, v2, v44                                 // 0000000079B8: 0A585902
	v_mov_b32_e32 v1, 0x7fff0000                               // 0000000079BC: 7E0202FF 7FFF0000
	v_mov_b32_e32 v5, 0x7fbfffff                               // 0000000079C4: 7E0A02FF 7FBFFFFF
	v_bfe_u32 v2, v43, 22, 1                                   // 0000000079CC: D1C80002 02052D2B
	v_and_b32_e32 v3, v43, v5                                  // 0000000079D4: 26060B2B
	v_cmp_eq_u32_e64 s[60:61], v3, 0                           // 0000000079D8: D0CA003C 00010103
	v_cndmask_b32_e64 v4, 1, 0, s[60:61]                       // 0000000079E0: D1000004 00F10081
	v_and_b32_e32 v4, v4, v2                                   // 0000000079E8: 26080504
	v_bfe_u32 v5, v43, 23, 8                                   // 0000000079EC: D1C80005 02212F2B
	v_add_u32_e32 v5, v5, v4                                   // 0000000079F4: 680A0905
	v_cmp_u_f32_e64 s[60:61], v43, v43                         // 0000000079F8: D048003C 0002572B
	v_lshlrev_b32_e32 v43, 23, v5                              // 000000007A00: 24560A97
	v_cndmask_b32_e64 v43, v43, v1, s[60:61]                   // 000000007A04: D100002B 00F2032B
	v_mov_b32_e32 v5, 0x7fbfffff                               // 000000007A0C: 7E0A02FF 7FBFFFFF
	v_bfe_u32 v2, v44, 22, 1                                   // 000000007A14: D1C80002 02052D2C
	v_and_b32_e32 v3, v44, v5                                  // 000000007A1C: 26060B2C
	v_cmp_eq_u32_e64 s[60:61], v3, 0                           // 000000007A20: D0CA003C 00010103
	v_cndmask_b32_e64 v4, 1, 0, s[60:61]                       // 000000007A28: D1000004 00F10081
	v_and_b32_e32 v4, v4, v2                                   // 000000007A30: 26080504
	v_bfe_u32 v5, v44, 23, 8                                   // 000000007A34: D1C80005 02212F2C
	v_add_u32_e32 v5, v5, v4                                   // 000000007A3C: 680A0905
	v_cmp_u_f32_e64 s[60:61], v44, v44                         // 000000007A40: D048003C 0002592C
	v_lshlrev_b32_e32 v44, 23, v5                              // 000000007A48: 24580A97
	v_cndmask_b32_e64 v44, v44, v1, s[60:61]                   // 000000007A4C: D100002C 00F2032C
	s_mov_b32 s60, 0xffff                                      // 000000007A54: BEBC00FF 0000FFFF
	v_cvt_scalef32_pk_fp4_f32 v64, v64, v65, v43               // 000000007A5C: D23D0040 04AE8340
	v_cvt_scalef32_pk_fp4_f32 v64, v66, v67, v43 op_sel:[0,0,1,0]// 000000007A64: D23D2040 04AE8742
	v_cvt_scalef32_pk_fp4_f32 v68, v68, v69, v43               // 000000007A6C: D23D0044 04AE8B44
	v_cvt_scalef32_pk_fp4_f32 v68, v70, v71, v43 op_sel:[0,0,1,0]// 000000007A74: D23D2044 04AE8F46
	s_nop 1                                                    // 000000007A7C: BF800001
	v_permlane16_swap_b32_e32 v64, v68                         // 000000007A80: 7E80B344
	s_nop 1                                                    // 000000007A84: BF800001
	v_and_b32_e64 v64, v64, s60                                // 000000007A88: D1130040 00007940
	v_lshlrev_b32_e32 v68, 16, v68                             // 000000007A90: 24888890
	v_or_b32_e32 v64, v64, v68                                 // 000000007A94: 28808940
	v_mov_b32_e32 v68, v64                                     // 000000007A98: 7E880340
	s_nop 1                                                    // 000000007A9C: BF800001
	v_permlane32_swap_b32_e32 v64, v68                         // 000000007AA0: 7E80B544
	s_nop 1                                                    // 000000007AA4: BF800001
	v_permlane16_swap_b32_e32 v64, v68                         // 000000007AA8: 7E80B344
	s_nop 1                                                    // 000000007AAC: BF800001
	v_permlane32_swap_b32_e32 v64, v68                         // 000000007AB0: 7E80B544
	s_nop 1                                                    // 000000007AB4: BF800001
	v_cvt_scalef32_pk_fp4_f32 v96, v96, v97, v44               // 000000007AB8: D23D0060 04B2C360
	v_cvt_scalef32_pk_fp4_f32 v96, v98, v99, v44 op_sel:[0,0,1,0]// 000000007AC0: D23D2060 04B2C762
	v_cvt_scalef32_pk_fp4_f32 v100, v100, v101, v44            // 000000007AC8: D23D0064 04B2CB64
	v_cvt_scalef32_pk_fp4_f32 v100, v102, v103, v44 op_sel:[0,0,1,0]// 000000007AD0: D23D2064 04B2CF66
	s_nop 1                                                    // 000000007AD8: BF800001
	v_permlane16_swap_b32_e32 v96, v100                        // 000000007ADC: 7EC0B364
	s_nop 1                                                    // 000000007AE0: BF800001
	v_and_b32_e64 v96, v96, s60                                // 000000007AE4: D1130060 00007960
	v_lshlrev_b32_e32 v100, 16, v100                           // 000000007AEC: 24C8C890
	v_or_b32_e32 v96, v96, v100                                // 000000007AF0: 28C0C960
	v_mov_b32_e32 v100, v96                                    // 000000007AF4: 7EC80360
	s_nop 1                                                    // 000000007AF8: BF800001
	v_permlane32_swap_b32_e32 v96, v100                        // 000000007AFC: 7EC0B564
	s_nop 1                                                    // 000000007B00: BF800001
	v_permlane16_swap_b32_e32 v96, v100                        // 000000007B04: 7EC0B364
	s_nop 1                                                    // 000000007B08: BF800001
	v_permlane32_swap_b32_e32 v96, v100                        // 000000007B0C: 7EC0B564
	s_nop 1                                                    // 000000007B10: BF800001
	v_mov_b32_e32 v45, 0x358637bd                              // 000000007B14: 7E5A02FF 358637BD
	v_mov_b32_e32 v46, 0x358637bd                              // 000000007B1C: 7E5C02FF 358637BD
	v_max3_f32 v45, |v72|, |v73|, v45                          // 000000007B24: D1D3032D 04B69348
	v_max3_f32 v45, |v74|, |v75|, v45                          // 000000007B2C: D1D3032D 04B6974A
	v_max3_f32 v45, |v76|, |v77|, v45                          // 000000007B34: D1D3032D 04B69B4C
	v_max3_f32 v45, |v78|, |v79|, v45                          // 000000007B3C: D1D3032D 04B69F4E
	v_max3_f32 v46, |v104|, |v105|, v46                        // 000000007B44: D1D3032E 04BAD368
	v_max3_f32 v46, |v106|, |v107|, v46                        // 000000007B4C: D1D3032E 04BAD76A
	v_max3_f32 v46, |v108|, |v109|, v46                        // 000000007B54: D1D3032E 04BADB6C
	v_max3_f32 v46, |v110|, |v111|, v46                        // 000000007B5C: D1D3032E 04BADF6E
	v_mov_b32_e32 v2, v45                                      // 000000007B64: 7E04032D
	s_nop 1                                                    // 000000007B68: BF800001
	v_permlane32_swap_b32_e32 v2, v45                          // 000000007B6C: 7E04B52D
	v_max_f32_e32 v45, v2, v45                                 // 000000007B70: 165A5B02
	v_mov_b32_e32 v2, v45                                      // 000000007B74: 7E04032D
	s_nop 1                                                    // 000000007B78: BF800001
	v_permlane16_swap_b32_e32 v2, v45                          // 000000007B7C: 7E04B32D
	v_max_f32_e32 v45, v2, v45                                 // 000000007B80: 165A5B02
	v_mov_b32_e32 v2, v46                                      // 000000007B84: 7E04032E
	s_nop 1                                                    // 000000007B88: BF800001
	v_permlane32_swap_b32_e32 v2, v46                          // 000000007B8C: 7E04B52E
	v_max_f32_e32 v46, v2, v46                                 // 000000007B90: 165C5D02
	v_mov_b32_e32 v2, v46                                      // 000000007B94: 7E04032E
	s_nop 1                                                    // 000000007B98: BF800001
	v_permlane16_swap_b32_e32 v2, v46                          // 000000007B9C: 7E04B32E
	v_max_f32_e32 v46, v2, v46                                 // 000000007BA0: 165C5D02
	v_mov_b32_e32 v2, 0x3e800000                               // 000000007BA4: 7E0402FF 3E800000
	v_mul_f32_e32 v45, v2, v45                                 // 000000007BAC: 0A5A5B02
	v_mul_f32_e32 v46, v2, v46                                 // 000000007BB0: 0A5C5D02
	v_mov_b32_e32 v1, 0x7fff0000                               // 000000007BB4: 7E0202FF 7FFF0000
	v_mov_b32_e32 v5, 0x7fbfffff                               // 000000007BBC: 7E0A02FF 7FBFFFFF
	v_bfe_u32 v2, v45, 22, 1                                   // 000000007BC4: D1C80002 02052D2D
	v_and_b32_e32 v3, v45, v5                                  // 000000007BCC: 26060B2D
	v_cmp_eq_u32_e64 s[60:61], v3, 0                           // 000000007BD0: D0CA003C 00010103
	v_cndmask_b32_e64 v4, 1, 0, s[60:61]                       // 000000007BD8: D1000004 00F10081
	v_and_b32_e32 v4, v4, v2                                   // 000000007BE0: 26080504
	v_bfe_u32 v5, v45, 23, 8                                   // 000000007BE4: D1C80005 02212F2D
	v_add_u32_e32 v5, v5, v4                                   // 000000007BEC: 680A0905
	v_cmp_u_f32_e64 s[60:61], v45, v45                         // 000000007BF0: D048003C 00025B2D
	v_lshlrev_b32_e32 v45, 23, v5                              // 000000007BF8: 245A0A97
	v_cndmask_b32_e64 v45, v45, v1, s[60:61]                   // 000000007BFC: D100002D 00F2032D
	v_mov_b32_e32 v5, 0x7fbfffff                               // 000000007C04: 7E0A02FF 7FBFFFFF
	v_bfe_u32 v2, v46, 22, 1                                   // 000000007C0C: D1C80002 02052D2E
	v_and_b32_e32 v3, v46, v5                                  // 000000007C14: 26060B2E
	v_cmp_eq_u32_e64 s[60:61], v3, 0                           // 000000007C18: D0CA003C 00010103
	v_cndmask_b32_e64 v4, 1, 0, s[60:61]                       // 000000007C20: D1000004 00F10081
	v_and_b32_e32 v4, v4, v2                                   // 000000007C28: 26080504
	v_bfe_u32 v5, v46, 23, 8                                   // 000000007C2C: D1C80005 02212F2E
	v_add_u32_e32 v5, v5, v4                                   // 000000007C34: 680A0905
	v_cmp_u_f32_e64 s[60:61], v46, v46                         // 000000007C38: D048003C 00025D2E
	v_lshlrev_b32_e32 v46, 23, v5                              // 000000007C40: 245C0A97
	v_cndmask_b32_e64 v46, v46, v1, s[60:61]                   // 000000007C44: D100002E 00F2032E
	s_mov_b32 s60, 0xffff                                      // 000000007C4C: BEBC00FF 0000FFFF
	v_cvt_scalef32_pk_fp4_f32 v72, v72, v73, v45               // 000000007C54: D23D0048 04B69348
	v_cvt_scalef32_pk_fp4_f32 v72, v74, v75, v45 op_sel:[0,0,1,0]// 000000007C5C: D23D2048 04B6974A
	v_cvt_scalef32_pk_fp4_f32 v76, v76, v77, v45               // 000000007C64: D23D004C 04B69B4C
	v_cvt_scalef32_pk_fp4_f32 v76, v78, v79, v45 op_sel:[0,0,1,0]// 000000007C6C: D23D204C 04B69F4E
	s_nop 1                                                    // 000000007C74: BF800001
	v_permlane16_swap_b32_e32 v72, v76                         // 000000007C78: 7E90B34C
	s_nop 1                                                    // 000000007C7C: BF800001
	v_and_b32_e64 v72, v72, s60                                // 000000007C80: D1130048 00007948
	v_lshlrev_b32_e32 v76, 16, v76                             // 000000007C88: 24989890
	v_or_b32_e32 v72, v72, v76                                 // 000000007C8C: 28909948
	v_mov_b32_e32 v76, v72                                     // 000000007C90: 7E980348
	s_nop 1                                                    // 000000007C94: BF800001
	v_permlane32_swap_b32_e32 v72, v76                         // 000000007C98: 7E90B54C
	s_nop 1                                                    // 000000007C9C: BF800001
	v_permlane16_swap_b32_e32 v72, v76                         // 000000007CA0: 7E90B34C
	s_nop 1                                                    // 000000007CA4: BF800001
	v_permlane32_swap_b32_e32 v72, v76                         // 000000007CA8: 7E90B54C
	s_nop 1                                                    // 000000007CAC: BF800001
	v_cvt_scalef32_pk_fp4_f32 v104, v104, v105, v46            // 000000007CB0: D23D0068 04BAD368
	v_cvt_scalef32_pk_fp4_f32 v104, v106, v107, v46 op_sel:[0,0,1,0]// 000000007CB8: D23D2068 04BAD76A
	v_cvt_scalef32_pk_fp4_f32 v108, v108, v109, v46            // 000000007CC0: D23D006C 04BADB6C
	v_cvt_scalef32_pk_fp4_f32 v108, v110, v111, v46 op_sel:[0,0,1,0]// 000000007CC8: D23D206C 04BADF6E
	s_nop 1                                                    // 000000007CD0: BF800001
	v_permlane16_swap_b32_e32 v104, v108                       // 000000007CD4: 7ED0B36C
	s_nop 1                                                    // 000000007CD8: BF800001
	v_and_b32_e64 v104, v104, s60                              // 000000007CDC: D1130068 00007968
	v_lshlrev_b32_e32 v108, 16, v108                           // 000000007CE4: 24D8D890
	v_or_b32_e32 v104, v104, v108                              // 000000007CE8: 28D0D968
	v_mov_b32_e32 v108, v104                                   // 000000007CEC: 7ED80368
	s_nop 1                                                    // 000000007CF0: BF800001
	v_permlane32_swap_b32_e32 v104, v108                       // 000000007CF4: 7ED0B56C
	s_nop 1                                                    // 000000007CF8: BF800001
	v_permlane16_swap_b32_e32 v104, v108                       // 000000007CFC: 7ED0B36C
	s_nop 1                                                    // 000000007D00: BF800001
	v_permlane32_swap_b32_e32 v104, v108                       // 000000007D04: 7ED0B56C
	s_nop 1                                                    // 000000007D08: BF800001
	v_mov_b32_e32 v47, 0x358637bd                              // 000000007D0C: 7E5E02FF 358637BD
	v_mov_b32_e32 v48, 0x358637bd                              // 000000007D14: 7E6002FF 358637BD
	v_max3_f32 v47, |v80|, |v81|, v47                          // 000000007D1C: D1D3032F 04BEA350
	v_max3_f32 v47, |v82|, |v83|, v47                          // 000000007D24: D1D3032F 04BEA752
	v_max3_f32 v47, |v84|, |v85|, v47                          // 000000007D2C: D1D3032F 04BEAB54
	v_max3_f32 v47, |v86|, |v87|, v47                          // 000000007D34: D1D3032F 04BEAF56
	v_max3_f32 v48, |v112|, |v113|, v48                        // 000000007D3C: D1D30330 04C2E370
	v_max3_f32 v48, |v114|, |v115|, v48                        // 000000007D44: D1D30330 04C2E772
	v_max3_f32 v48, |v116|, |v117|, v48                        // 000000007D4C: D1D30330 04C2EB74
	v_max3_f32 v48, |v118|, |v119|, v48                        // 000000007D54: D1D30330 04C2EF76
	v_mov_b32_e32 v2, v47                                      // 000000007D5C: 7E04032F
	s_nop 1                                                    // 000000007D60: BF800001
	v_permlane32_swap_b32_e32 v2, v47                          // 000000007D64: 7E04B52F
	v_max_f32_e32 v47, v2, v47                                 // 000000007D68: 165E5F02
	v_mov_b32_e32 v2, v47                                      // 000000007D6C: 7E04032F
	s_nop 1                                                    // 000000007D70: BF800001
	v_permlane16_swap_b32_e32 v2, v47                          // 000000007D74: 7E04B32F
	v_max_f32_e32 v47, v2, v47                                 // 000000007D78: 165E5F02
	v_mov_b32_e32 v2, v48                                      // 000000007D7C: 7E040330
	s_nop 1                                                    // 000000007D80: BF800001
	v_permlane32_swap_b32_e32 v2, v48                          // 000000007D84: 7E04B530
	v_max_f32_e32 v48, v2, v48                                 // 000000007D88: 16606102
	v_mov_b32_e32 v2, v48                                      // 000000007D8C: 7E040330
	s_nop 1                                                    // 000000007D90: BF800001
	v_permlane16_swap_b32_e32 v2, v48                          // 000000007D94: 7E04B330
	v_max_f32_e32 v48, v2, v48                                 // 000000007D98: 16606102
	v_mov_b32_e32 v2, 0x3e800000                               // 000000007D9C: 7E0402FF 3E800000
	v_mul_f32_e32 v47, v2, v47                                 // 000000007DA4: 0A5E5F02
	v_mul_f32_e32 v48, v2, v48                                 // 000000007DA8: 0A606102
	v_mov_b32_e32 v1, 0x7fff0000                               // 000000007DAC: 7E0202FF 7FFF0000
	v_mov_b32_e32 v5, 0x7fbfffff                               // 000000007DB4: 7E0A02FF 7FBFFFFF
	v_bfe_u32 v2, v47, 22, 1                                   // 000000007DBC: D1C80002 02052D2F
	v_and_b32_e32 v3, v47, v5                                  // 000000007DC4: 26060B2F
	v_cmp_eq_u32_e64 s[60:61], v3, 0                           // 000000007DC8: D0CA003C 00010103
	v_cndmask_b32_e64 v4, 1, 0, s[60:61]                       // 000000007DD0: D1000004 00F10081
	v_and_b32_e32 v4, v4, v2                                   // 000000007DD8: 26080504
	v_bfe_u32 v5, v47, 23, 8                                   // 000000007DDC: D1C80005 02212F2F
	v_add_u32_e32 v5, v5, v4                                   // 000000007DE4: 680A0905
	v_cmp_u_f32_e64 s[60:61], v47, v47                         // 000000007DE8: D048003C 00025F2F
	v_lshlrev_b32_e32 v47, 23, v5                              // 000000007DF0: 245E0A97
	v_cndmask_b32_e64 v47, v47, v1, s[60:61]                   // 000000007DF4: D100002F 00F2032F
	v_mov_b32_e32 v5, 0x7fbfffff                               // 000000007DFC: 7E0A02FF 7FBFFFFF
	v_bfe_u32 v2, v48, 22, 1                                   // 000000007E04: D1C80002 02052D30
	v_and_b32_e32 v3, v48, v5                                  // 000000007E0C: 26060B30
	v_cmp_eq_u32_e64 s[60:61], v3, 0                           // 000000007E10: D0CA003C 00010103
	v_cndmask_b32_e64 v4, 1, 0, s[60:61]                       // 000000007E18: D1000004 00F10081
	v_and_b32_e32 v4, v4, v2                                   // 000000007E20: 26080504
	v_bfe_u32 v5, v48, 23, 8                                   // 000000007E24: D1C80005 02212F30
	v_add_u32_e32 v5, v5, v4                                   // 000000007E2C: 680A0905
	v_cmp_u_f32_e64 s[60:61], v48, v48                         // 000000007E30: D048003C 00026130
	v_lshlrev_b32_e32 v48, 23, v5                              // 000000007E38: 24600A97
	v_cndmask_b32_e64 v48, v48, v1, s[60:61]                   // 000000007E3C: D1000030 00F20330
	s_mov_b32 s60, 0xffff                                      // 000000007E44: BEBC00FF 0000FFFF
	v_cvt_scalef32_pk_fp4_f32 v80, v80, v81, v47               // 000000007E4C: D23D0050 04BEA350
	v_cvt_scalef32_pk_fp4_f32 v80, v82, v83, v47 op_sel:[0,0,1,0]// 000000007E54: D23D2050 04BEA752
	v_cvt_scalef32_pk_fp4_f32 v84, v84, v85, v47               // 000000007E5C: D23D0054 04BEAB54
	v_cvt_scalef32_pk_fp4_f32 v84, v86, v87, v47 op_sel:[0,0,1,0]// 000000007E64: D23D2054 04BEAF56
	s_nop 1                                                    // 000000007E6C: BF800001
	v_permlane16_swap_b32_e32 v80, v84                         // 000000007E70: 7EA0B354
	s_nop 1                                                    // 000000007E74: BF800001
	v_and_b32_e64 v80, v80, s60                                // 000000007E78: D1130050 00007950
	v_lshlrev_b32_e32 v84, 16, v84                             // 000000007E80: 24A8A890
	v_or_b32_e32 v80, v80, v84                                 // 000000007E84: 28A0A950
	v_mov_b32_e32 v84, v80                                     // 000000007E88: 7EA80350
	s_nop 1                                                    // 000000007E8C: BF800001
	v_permlane32_swap_b32_e32 v80, v84                         // 000000007E90: 7EA0B554
	s_nop 1                                                    // 000000007E94: BF800001
	v_permlane16_swap_b32_e32 v80, v84                         // 000000007E98: 7EA0B354
	s_nop 1                                                    // 000000007E9C: BF800001
	v_permlane32_swap_b32_e32 v80, v84                         // 000000007EA0: 7EA0B554
	s_nop 1                                                    // 000000007EA4: BF800001
	v_cvt_scalef32_pk_fp4_f32 v112, v112, v113, v48            // 000000007EA8: D23D0070 04C2E370
	v_cvt_scalef32_pk_fp4_f32 v112, v114, v115, v48 op_sel:[0,0,1,0]// 000000007EB0: D23D2070 04C2E772
	v_cvt_scalef32_pk_fp4_f32 v116, v116, v117, v48            // 000000007EB8: D23D0074 04C2EB74
	v_cvt_scalef32_pk_fp4_f32 v116, v118, v119, v48 op_sel:[0,0,1,0]// 000000007EC0: D23D2074 04C2EF76
	s_nop 1                                                    // 000000007EC8: BF800001
	v_permlane16_swap_b32_e32 v112, v116                       // 000000007ECC: 7EE0B374
	s_nop 1                                                    // 000000007ED0: BF800001
	v_and_b32_e64 v112, v112, s60                              // 000000007ED4: D1130070 00007970
	v_lshlrev_b32_e32 v116, 16, v116                           // 000000007EDC: 24E8E890
	v_or_b32_e32 v112, v112, v116                              // 000000007EE0: 28E0E970
	v_mov_b32_e32 v116, v112                                   // 000000007EE4: 7EE80370
	s_nop 1                                                    // 000000007EE8: BF800001
	v_permlane32_swap_b32_e32 v112, v116                       // 000000007EEC: 7EE0B574
	s_nop 1                                                    // 000000007EF0: BF800001
	v_permlane16_swap_b32_e32 v112, v116                       // 000000007EF4: 7EE0B374
	s_nop 1                                                    // 000000007EF8: BF800001
	v_permlane32_swap_b32_e32 v112, v116                       // 000000007EFC: 7EE0B574
	s_nop 1                                                    // 000000007F00: BF800001
	v_mov_b32_e32 v49, 0x358637bd                              // 000000007F04: 7E6202FF 358637BD
	v_mov_b32_e32 v50, 0x358637bd                              // 000000007F0C: 7E6402FF 358637BD
	v_max3_f32 v49, |v88|, |v89|, v49                          // 000000007F14: D1D30331 04C6B358
	v_max3_f32 v49, |v90|, |v91|, v49                          // 000000007F1C: D1D30331 04C6B75A
	v_max3_f32 v49, |v92|, |v93|, v49                          // 000000007F24: D1D30331 04C6BB5C
	v_max3_f32 v49, |v94|, |v95|, v49                          // 000000007F2C: D1D30331 04C6BF5E
	v_max3_f32 v50, |v120|, |v121|, v50                        // 000000007F34: D1D30332 04CAF378
	v_max3_f32 v50, |v122|, |v123|, v50                        // 000000007F3C: D1D30332 04CAF77A
	v_max3_f32 v50, |v124|, |v125|, v50                        // 000000007F44: D1D30332 04CAFB7C
	v_max3_f32 v50, |v126|, |v127|, v50                        // 000000007F4C: D1D30332 04CAFF7E
	v_mov_b32_e32 v2, v49                                      // 000000007F54: 7E040331
	s_nop 1                                                    // 000000007F58: BF800001
	v_permlane32_swap_b32_e32 v2, v49                          // 000000007F5C: 7E04B531
	v_max_f32_e32 v49, v2, v49                                 // 000000007F60: 16626302
	v_mov_b32_e32 v2, v49                                      // 000000007F64: 7E040331
	s_nop 1                                                    // 000000007F68: BF800001
	v_permlane16_swap_b32_e32 v2, v49                          // 000000007F6C: 7E04B331
	v_max_f32_e32 v49, v2, v49                                 // 000000007F70: 16626302
	v_mov_b32_e32 v2, v50                                      // 000000007F74: 7E040332
	s_nop 1                                                    // 000000007F78: BF800001
	v_permlane32_swap_b32_e32 v2, v50                          // 000000007F7C: 7E04B532
	v_max_f32_e32 v50, v2, v50                                 // 000000007F80: 16646502
	v_mov_b32_e32 v2, v50                                      // 000000007F84: 7E040332
	s_nop 1                                                    // 000000007F88: BF800001
	v_permlane16_swap_b32_e32 v2, v50                          // 000000007F8C: 7E04B332
	v_max_f32_e32 v50, v2, v50                                 // 000000007F90: 16646502
	v_mov_b32_e32 v2, 0x3e800000                               // 000000007F94: 7E0402FF 3E800000
	v_mul_f32_e32 v49, v2, v49                                 // 000000007F9C: 0A626302
	v_mul_f32_e32 v50, v2, v50                                 // 000000007FA0: 0A646502
	v_mov_b32_e32 v1, 0x7fff0000                               // 000000007FA4: 7E0202FF 7FFF0000
	v_mov_b32_e32 v5, 0x7fbfffff                               // 000000007FAC: 7E0A02FF 7FBFFFFF
	v_bfe_u32 v2, v49, 22, 1                                   // 000000007FB4: D1C80002 02052D31
	v_and_b32_e32 v3, v49, v5                                  // 000000007FBC: 26060B31
	v_cmp_eq_u32_e64 s[60:61], v3, 0                           // 000000007FC0: D0CA003C 00010103
	v_cndmask_b32_e64 v4, 1, 0, s[60:61]                       // 000000007FC8: D1000004 00F10081
	v_and_b32_e32 v4, v4, v2                                   // 000000007FD0: 26080504
	v_bfe_u32 v5, v49, 23, 8                                   // 000000007FD4: D1C80005 02212F31
	v_add_u32_e32 v5, v5, v4                                   // 000000007FDC: 680A0905
	v_cmp_u_f32_e64 s[60:61], v49, v49                         // 000000007FE0: D048003C 00026331
	v_lshlrev_b32_e32 v49, 23, v5                              // 000000007FE8: 24620A97
	v_cndmask_b32_e64 v49, v49, v1, s[60:61]                   // 000000007FEC: D1000031 00F20331
	v_mov_b32_e32 v5, 0x7fbfffff                               // 000000007FF4: 7E0A02FF 7FBFFFFF
	v_bfe_u32 v2, v50, 22, 1                                   // 000000007FFC: D1C80002 02052D32
	v_and_b32_e32 v3, v50, v5                                  // 000000008004: 26060B32
	v_cmp_eq_u32_e64 s[60:61], v3, 0                           // 000000008008: D0CA003C 00010103
	v_cndmask_b32_e64 v4, 1, 0, s[60:61]                       // 000000008010: D1000004 00F10081
	v_and_b32_e32 v4, v4, v2                                   // 000000008018: 26080504
	v_bfe_u32 v5, v50, 23, 8                                   // 00000000801C: D1C80005 02212F32
	v_add_u32_e32 v5, v5, v4                                   // 000000008024: 680A0905
	v_cmp_u_f32_e64 s[60:61], v50, v50                         // 000000008028: D048003C 00026532
	v_lshlrev_b32_e32 v50, 23, v5                              // 000000008030: 24640A97
	v_cndmask_b32_e64 v50, v50, v1, s[60:61]                   // 000000008034: D1000032 00F20332
	s_mov_b32 s60, 0xffff                                      // 00000000803C: BEBC00FF 0000FFFF
	v_cvt_scalef32_pk_fp4_f32 v88, v88, v89, v49               // 000000008044: D23D0058 04C6B358
	v_cvt_scalef32_pk_fp4_f32 v88, v90, v91, v49 op_sel:[0,0,1,0]// 00000000804C: D23D2058 04C6B75A
	v_cvt_scalef32_pk_fp4_f32 v92, v92, v93, v49               // 000000008054: D23D005C 04C6BB5C
	v_cvt_scalef32_pk_fp4_f32 v92, v94, v95, v49 op_sel:[0,0,1,0]// 00000000805C: D23D205C 04C6BF5E
	s_nop 1                                                    // 000000008064: BF800001
	v_permlane16_swap_b32_e32 v88, v92                         // 000000008068: 7EB0B35C
	s_nop 1                                                    // 00000000806C: BF800001
	v_and_b32_e64 v88, v88, s60                                // 000000008070: D1130058 00007958
	v_lshlrev_b32_e32 v92, 16, v92                             // 000000008078: 24B8B890
	v_or_b32_e32 v88, v88, v92                                 // 00000000807C: 28B0B958
	v_mov_b32_e32 v92, v88                                     // 000000008080: 7EB80358
	s_nop 1                                                    // 000000008084: BF800001
	v_permlane32_swap_b32_e32 v88, v92                         // 000000008088: 7EB0B55C
	s_nop 1                                                    // 00000000808C: BF800001
	v_permlane16_swap_b32_e32 v88, v92                         // 000000008090: 7EB0B35C
	s_nop 1                                                    // 000000008094: BF800001
	v_permlane32_swap_b32_e32 v88, v92                         // 000000008098: 7EB0B55C
	s_nop 1                                                    // 00000000809C: BF800001
	v_cvt_scalef32_pk_fp4_f32 v120, v120, v121, v50            // 0000000080A0: D23D0078 04CAF378
	v_cvt_scalef32_pk_fp4_f32 v120, v122, v123, v50 op_sel:[0,0,1,0]// 0000000080A8: D23D2078 04CAF77A
	v_cvt_scalef32_pk_fp4_f32 v124, v124, v125, v50            // 0000000080B0: D23D007C 04CAFB7C
	v_cvt_scalef32_pk_fp4_f32 v124, v126, v127, v50 op_sel:[0,0,1,0]// 0000000080B8: D23D207C 04CAFF7E
	s_nop 1                                                    // 0000000080C0: BF800001
	v_permlane16_swap_b32_e32 v120, v124                       // 0000000080C4: 7EF0B37C
	s_nop 1                                                    // 0000000080C8: BF800001
	v_and_b32_e64 v120, v120, s60                              // 0000000080CC: D1130078 00007978
	v_lshlrev_b32_e32 v124, 16, v124                           // 0000000080D4: 24F8F890
	v_or_b32_e32 v120, v120, v124                              // 0000000080D8: 28F0F978
	v_mov_b32_e32 v124, v120                                   // 0000000080DC: 7EF80378
	s_nop 1                                                    // 0000000080E0: BF800001
	v_permlane32_swap_b32_e32 v120, v124                       // 0000000080E4: 7EF0B57C
	s_nop 1                                                    // 0000000080E8: BF800001
	v_permlane16_swap_b32_e32 v120, v124                       // 0000000080EC: 7EF0B37C
	s_nop 1                                                    // 0000000080F0: BF800001
	v_permlane32_swap_b32_e32 v120, v124                       // 0000000080F4: 7EF0B57C
	s_nop 1                                                    // 0000000080F8: BF800001
	v_lshrrev_b32_e32 v2, 5, v0                                // 0000000080FC: 20040085
	v_lshlrev_b32_e32 v3, 6, v2                                // 000000008100: 24060486
	v_and_b32_e32 v2, 31, v0                                   // 000000008104: 2604009F
	v_lshrrev_b32_e32 v4, 4, v2                                // 000000008108: 20080484
	v_add_u32_e32 v3, v4, v3                                   // 00000000810C: 68060704
	v_and_b32_e32 v2, 15, v0                                   // 000000008110: 2604008F
	v_lshlrev_b32_e32 v2, 1, v2                                // 000000008114: 24040481
	v_add_u32_e32 v3, v2, v3                                   // 000000008118: 68060702
	v_lshlrev_b32_e32 v2, 2, v3                                // 00000000811C: 24040682
	s_mov_b32 s60, 0                                           // 000000008120: BEBC0080
	s_lshr_b32 s61, s7, 1                                      // 000000008124: 8F3D8107
	s_mul_i32 s61, s61, 0x200                                  // 000000008128: 923DFF3D 00000200
	s_add_u32 s60, s61, s60                                    // 000000008130: 803C3C3D
	s_and_b32 s61, s7, 1                                       // 000000008134: 863D8107
	s_mul_i32 s61, s61, 0x80                                   // 000000008138: 923DFF3D 00000080
	s_add_u32 s60, s61, s60                                    // 000000008140: 803C3C3D
	v_add_u32_e64 v2, v2, s60                                  // 000000008144: D1340002 00007902
	ds_write_b32 v2, v64                                       // 00000000814C: D81A0000 00004002
	ds_write_b32 v2, v72 offset:1024                           // 000000008154: D81A0400 00004802
	ds_write_b32 v2, v80 offset:2048                           // 00000000815C: D81A0800 00005002
	ds_write_b32 v2, v88 offset:3072                           // 000000008164: D81A0C00 00005802
	ds_write_b32 v2, v96 offset:4096                           // 00000000816C: D81A1000 00006002
	ds_write_b32 v2, v104 offset:5120                          // 000000008174: D81A1400 00006802
	ds_write_b32 v2, v112 offset:6144                          // 00000000817C: D81A1800 00007002
	ds_write_b32 v2, v120 offset:7168                          // 000000008184: D81A1C00 00007802
	s_waitcnt lgkmcnt(0)                                       // 00000000818C: BF8CC07F
	s_barrier                                                  // 000000008190: BF8A0000
	v_and_b32_e32 v2, 31, v0                                   // 000000008194: 2604009F
	v_lshrrev_b32_e32 v2, 4, v2                                // 000000008198: 20040484
	v_lshlrev_b32_e32 v3, 5, v2                                // 00000000819C: 24060485
	v_lshrrev_b32_e32 v2, 5, v0                                // 0000000081A0: 20040085
	v_lshlrev_b32_e32 v2, 7, v2                                // 0000000081A4: 24040487
	v_add_u32_e32 v3, v2, v3                                   // 0000000081A8: 68060702
	v_and_b32_e32 v2, 15, v0                                   // 0000000081AC: 2604008F
	v_lshlrev_b32_e32 v2, 1, v2                                // 0000000081B0: 24040481
	v_add_u32_e32 v3, v2, v3                                   // 0000000081B4: 68060702
	v_lshlrev_b32_e32 v2, 2, v3                                // 0000000081B8: 24040682
	ds_read_b64 v[64:65], v2                                   // 0000000081BC: D8EC0000 40000002
	ds_read_b64 v[66:67], v2 offset:256                        // 0000000081C4: D8EC0100 42000002
	ds_read_b64 v[68:69], v2 offset:1024                       // 0000000081CC: D8EC0400 44000002
	ds_read_b64 v[70:71], v2 offset:1280                       // 0000000081D4: D8EC0500 46000002
	ds_read_b64 v[72:73], v2 offset:2048                       // 0000000081DC: D8EC0800 48000002
	ds_read_b64 v[74:75], v2 offset:2304                       // 0000000081E4: D8EC0900 4A000002
	ds_read_b64 v[76:77], v2 offset:3072                       // 0000000081EC: D8EC0C00 4C000002
	ds_read_b64 v[78:79], v2 offset:3328                       // 0000000081F4: D8EC0D00 4E000002
	ds_read_b64 v[80:81], v2 offset:4096                       // 0000000081FC: D8EC1000 50000002
	ds_read_b64 v[82:83], v2 offset:4352                       // 000000008204: D8EC1100 52000002
	ds_read_b64 v[84:85], v2 offset:5120                       // 00000000820C: D8EC1400 54000002
	ds_read_b64 v[86:87], v2 offset:5376                       // 000000008214: D8EC1500 56000002
	ds_read_b64 v[88:89], v2 offset:6144                       // 00000000821C: D8EC1800 58000002
	ds_read_b64 v[90:91], v2 offset:6400                       // 000000008224: D8EC1900 5A000002
	ds_read_b64 v[92:93], v2 offset:7168                       // 00000000822C: D8EC1C00 5C000002
	ds_read_b64 v[94:95], v2 offset:7424                       // 000000008234: D8EC1D00 5E000002
	s_waitcnt lgkmcnt(0)                                       // 00000000823C: BF8CC07F
	s_barrier                                                  // 000000008240: BF8A0000
	v_lshrrev_b32_e32 v2, 5, v0                                // 000000008244: 20040085
	v_lshlrev_b32_e32 v3, 6, v2                                // 000000008248: 24060486
	v_and_b32_e32 v2, 31, v0                                   // 00000000824C: 2604009F
	v_lshrrev_b32_e32 v4, 4, v2                                // 000000008250: 20080484
	v_add_u32_e32 v3, v4, v3                                   // 000000008254: 68060704
	v_and_b32_e32 v2, 15, v0                                   // 000000008258: 2604008F
	v_lshlrev_b32_e32 v2, 1, v2                                // 00000000825C: 24040481
	v_add_u32_e32 v3, v2, v3                                   // 000000008260: 68060702
	v_lshlrev_b32_e32 v2, 2, v3                                // 000000008264: 24040682
	s_mov_b32 s60, 0                                           // 000000008268: BEBC0080
	s_lshr_b32 s61, s7, 1                                      // 00000000826C: 8F3D8107
	s_mul_i32 s61, s61, 0x200                                  // 000000008270: 923DFF3D 00000200
	s_add_u32 s60, s61, s60                                    // 000000008278: 803C3C3D
	s_and_b32 s61, s7, 1                                       // 00000000827C: 863D8107
	s_mul_i32 s61, s61, 0x80                                   // 000000008280: 923DFF3D 00000080
	s_add_u32 s60, s61, s60                                    // 000000008288: 803C3C3D
	v_add_u32_e64 v2, v2, s60                                  // 00000000828C: D1340002 00007902
	ds_write_b32 v2, v43                                       // 000000008294: D81A0000 00002B02
	ds_write_b32 v2, v45 offset:1024                           // 00000000829C: D81A0400 00002D02
	ds_write_b32 v2, v47 offset:2048                           // 0000000082A4: D81A0800 00002F02
	ds_write_b32 v2, v49 offset:3072                           // 0000000082AC: D81A0C00 00003102
	ds_write_b32 v2, v44 offset:4096                           // 0000000082B4: D81A1000 00002C02
	ds_write_b32 v2, v46 offset:5120                           // 0000000082BC: D81A1400 00002E02
	ds_write_b32 v2, v48 offset:6144                           // 0000000082C4: D81A1800 00003002
	ds_write_b32 v2, v50 offset:7168                           // 0000000082CC: D81A1C00 00003202
	s_waitcnt lgkmcnt(0)                                       // 0000000082D4: BF8CC07F
	s_barrier                                                  // 0000000082D8: BF8A0000
	v_and_b32_e32 v2, 31, v0                                   // 0000000082DC: 2604009F
	v_lshrrev_b32_e32 v2, 4, v2                                // 0000000082E0: 20040484
	v_lshlrev_b32_e32 v3, 5, v2                                // 0000000082E4: 24060485
	v_lshrrev_b32_e32 v2, 5, v0                                // 0000000082E8: 20040085
	v_lshlrev_b32_e32 v2, 7, v2                                // 0000000082EC: 24040487
	v_add_u32_e32 v3, v2, v3                                   // 0000000082F0: 68060702
	v_and_b32_e32 v2, 15, v0                                   // 0000000082F4: 2604008F
	v_lshlrev_b32_e32 v2, 1, v2                                // 0000000082F8: 24040481
	v_add_u32_e32 v3, v2, v3                                   // 0000000082FC: 68060702
	v_lshlrev_b32_e32 v2, 2, v3                                // 000000008300: 24040682
	ds_read_b32 v43, v2                                        // 000000008304: D86C0000 2B000002
	ds_read_b32 v45, v2 offset:1024                            // 00000000830C: D86C0400 2D000002
	ds_read_b32 v47, v2 offset:2048                            // 000000008314: D86C0800 2F000002
	ds_read_b32 v49, v2 offset:3072                            // 00000000831C: D86C0C00 31000002
	ds_read_b32 v44, v2 offset:4096                            // 000000008324: D86C1000 2C000002
	ds_read_b32 v46, v2 offset:5120                            // 00000000832C: D86C1400 2E000002
	ds_read_b32 v48, v2 offset:6144                            // 000000008334: D86C1800 30000002
	ds_read_b32 v50, v2 offset:7168                            // 00000000833C: D86C1C00 32000002
	s_waitcnt lgkmcnt(0)                                       // 000000008344: BF8CC07F
	s_barrier                                                  // 000000008348: BF8A0000
	v_bfe_u32 v43, v43, 23, 8                                  // 00000000834C: D1C8002B 02212F2B
	v_bfe_u32 v44, v44, 23, 8                                  // 000000008354: D1C8002C 02212F2C
	v_bfe_u32 v45, v45, 23, 8                                  // 00000000835C: D1C8002D 02212F2D
	v_bfe_u32 v46, v46, 23, 8                                  // 000000008364: D1C8002E 02212F2E
	v_bfe_u32 v47, v47, 23, 8                                  // 00000000836C: D1C8002F 02212F2F
	v_bfe_u32 v48, v48, 23, 8                                  // 000000008374: D1C80030 02212F30
	v_bfe_u32 v49, v49, 23, 8                                  // 00000000837C: D1C80031 02212F31
	v_bfe_u32 v50, v50, 23, 8                                  // 000000008384: D1C80032 02212F32
	v_mov_b32_e32 v2, 0                                        // 00000000838C: 7E040280
	v_lshlrev_b32_e32 v43, 0, v43                              // 000000008390: 24565680
	v_or_b32_e32 v2, v2, v43                                   // 000000008394: 28045702
	v_lshlrev_b32_e32 v44, 8, v44                              // 000000008398: 24585888
	v_or_b32_e32 v2, v2, v44                                   // 00000000839C: 28045902
	v_lshlrev_b32_e32 v45, 16, v45                             // 0000000083A0: 245A5A90
	v_or_b32_e32 v2, v2, v45                                   // 0000000083A4: 28045B02
	v_lshlrev_b32_e32 v46, 24, v46                             // 0000000083A8: 245C5C98
	v_or_b32_e32 v2, v2, v46                                   // 0000000083AC: 28045D02
	v_mov_b32_e32 v43, v2                                      // 0000000083B0: 7E560302
	v_mov_b32_e32 v2, 0                                        // 0000000083B4: 7E040280
	v_lshlrev_b32_e32 v47, 0, v47                              // 0000000083B8: 245E5E80
	v_or_b32_e32 v2, v2, v47                                   // 0000000083BC: 28045F02
	v_lshlrev_b32_e32 v48, 8, v48                              // 0000000083C0: 24606088
	v_or_b32_e32 v2, v2, v48                                   // 0000000083C4: 28046102
	v_lshlrev_b32_e32 v49, 16, v49                             // 0000000083C8: 24626290
	v_or_b32_e32 v2, v2, v49                                   // 0000000083CC: 28046302
	v_lshlrev_b32_e32 v50, 24, v50                             // 0000000083D0: 24646498
	v_or_b32_e32 v2, v2, v50                                   // 0000000083D4: 28046502
	v_mov_b32_e32 v44, v2                                      // 0000000083D8: 7E580302
	s_add_u32 s12, s56, s12                                    // 0000000083DC: 800C0C38
	s_addc_u32 s13, 0, s13                                     // 0000000083E0: 820D0D80
	s_add_u32 s16, s79, s16                                    // 0000000083E4: 8010104F
	s_addc_u32 s17, 0, s17                                     // 0000000083E8: 82111180
	s_waitcnt lgkmcnt(0)                                       // 0000000083EC: BF8CC07F
	s_barrier                                                  // 0000000083F0: BF8A0000
	v_mov_b32_e32 v160, 0                                      // 0000000083F4: 7F400280
	v_mov_b32_e32 v192, 0                                      // 0000000083F8: 7F800280
	v_mov_b32_e32 v161, 0                                      // 0000000083FC: 7F420280
	v_mov_b32_e32 v193, 0                                      // 000000008400: 7F820280
	v_mov_b32_e32 v162, 0                                      // 000000008404: 7F440280
	v_mov_b32_e32 v194, 0                                      // 000000008408: 7F840280
	v_mov_b32_e32 v163, 0                                      // 00000000840C: 7F460280
	v_mov_b32_e32 v195, 0                                      // 000000008410: 7F860280
	v_mov_b32_e32 v164, 0                                      // 000000008414: 7F480280
	v_mov_b32_e32 v196, 0                                      // 000000008418: 7F880280
	v_mov_b32_e32 v165, 0                                      // 00000000841C: 7F4A0280
	v_mov_b32_e32 v197, 0                                      // 000000008420: 7F8A0280
	v_mov_b32_e32 v166, 0                                      // 000000008424: 7F4C0280
	v_mov_b32_e32 v198, 0                                      // 000000008428: 7F8C0280
	v_mov_b32_e32 v167, 0                                      // 00000000842C: 7F4E0280
	v_mov_b32_e32 v199, 0                                      // 000000008430: 7F8E0280
	v_mov_b32_e32 v168, 0                                      // 000000008434: 7F500280
	v_mov_b32_e32 v200, 0                                      // 000000008438: 7F900280
	v_mov_b32_e32 v169, 0                                      // 00000000843C: 7F520280
	v_mov_b32_e32 v201, 0                                      // 000000008440: 7F920280
	v_mov_b32_e32 v170, 0                                      // 000000008444: 7F540280
	v_mov_b32_e32 v202, 0                                      // 000000008448: 7F940280
	v_mov_b32_e32 v171, 0                                      // 00000000844C: 7F560280
	v_mov_b32_e32 v203, 0                                      // 000000008450: 7F960280
	v_mov_b32_e32 v172, 0                                      // 000000008454: 7F580280
	v_mov_b32_e32 v204, 0                                      // 000000008458: 7F980280
	v_mov_b32_e32 v173, 0                                      // 00000000845C: 7F5A0280
	v_mov_b32_e32 v205, 0                                      // 000000008460: 7F9A0280
	v_mov_b32_e32 v174, 0                                      // 000000008464: 7F5C0280
	v_mov_b32_e32 v206, 0                                      // 000000008468: 7F9C0280
	v_mov_b32_e32 v175, 0                                      // 00000000846C: 7F5E0280
	v_mov_b32_e32 v207, 0                                      // 000000008470: 7F9E0280
	ds_write_b64 v8, v[160:161]                                // 000000008474: D89A0000 0000A008
	ds_write_b64 v8, v[162:163] offset:8704                    // 00000000847C: D89A2200 0000A208
	ds_write_b64 v8, v[164:165] offset:544                     // 000000008484: D89A0220 0000A408
	ds_write_b64 v8, v[166:167] offset:9248                    // 00000000848C: D89A2420 0000A608
	ds_write_b64 v8, v[168:169] offset:4352                    // 000000008494: D89A1100 0000A808
	ds_write_b64 v8, v[170:171] offset:13056                   // 00000000849C: D89A3300 0000AA08
	ds_write_b64 v8, v[172:173] offset:4896                    // 0000000084A4: D89A1320 0000AC08
	ds_write_b64 v8, v[174:175] offset:13600                   // 0000000084AC: D89A3520 0000AE08
	s_mov_b32 s80, 0                                           // 0000000084B4: BED00080
	s_waitcnt vmcnt(0) expcnt(0) lgkmcnt(0)                    // 0000000084B8: BF8C0000

00000000000084bc <label_166F>:
	s_waitcnt vmcnt(14) lgkmcnt(0)                             // 0000000084BC: BF8C007E
	s_barrier                                                  // 0000000084C0: BF8A0000
	v_mfma_scale_f32_16x16x128_f8f6f4 v[160:163], a[0:3], v[64:67], 0, v25, v43 op_sel_hi:[0,0,0] cbsz:4 blgp:4// 0000000084C4: D3AC0000 00025719 D3AD0CA0 8A028100
	buffer_load_dwordx4 a[64:67], v60, s[12:15], 0 offen       // 0000000084D4: E05C1000 8083403C
	v_mfma_scale_f32_16x16x128_f8f6f4 v[164:167], a[0:3], v[80:83], 0, v25, v43 op_sel_hi:[0,0,0] cbsz:4 blgp:4// 0000000084DC: D3AC7000 00025719 D3AD0CA4 8A02A100
	ds_read_b32 v128, v9                                       // 0000000084EC: D86C0000 80000009
	ds_read_b32 v129, v9 offset:4352                           // 0000000084F4: D86C1100 81000009
	ds_read_b32 v130, v9 offset:8                              // 0000000084FC: D86C0008 82000009
	ds_read_b32 v131, v9 offset:4360                           // 000000008504: D86C1108 83000009
	v_mfma_scale_f32_16x16x128_f8f6f4 v[168:171], a[4:7], v[64:67], 0, v25, v43 op_sel_hi:[0,0,0] cbsz:4 blgp:4// 00000000850C: D3AC6800 00025719 D3AD0CA8 8A028104
	buffer_load_dwordx4 a[68:71], v61, s[12:15], 0 offen       // 00000000851C: E05C1000 8083443D
	buffer_load_dword v29, v10, s[16:19], 0 offen              // 000000008524: E0501000 80041D0A
	buffer_load_dword v30, v11, s[16:19], 0 offen              // 00000000852C: E0501000 80041E0B
	buffer_load_dword v31, v10, s[16:19], 0 offen offset:256   // 000000008534: E0501100 80041F0A
	buffer_load_dword v32, v11, s[16:19], 0 offen offset:256   // 00000000853C: E0501100 8004200B
	v_mfma_scale_f32_16x16x128_f8f6f4 v[172:175], a[4:7], v[80:83], 0, v25, v43 op_sel_hi:[0,0,0] cbsz:4 blgp:4// 000000008544: D3AC7800 00025719 D3AD0CAC 8A02A104
	ds_read_b32 v132, v9 offset:32                             // 000000008554: D86C0020 84000009
	ds_read_b32 v133, v9 offset:4384                           // 00000000855C: D86C1120 85000009
	ds_read_b32 v134, v9 offset:40                             // 000000008564: D86C0028 86000009
	ds_read_b32 v135, v9 offset:4392                           // 00000000856C: D86C1128 87000009
	s_waitcnt vmcnt(18)                                        // 000000008574: BF8C4F72
	v_mfma_scale_f32_16x16x128_f8f6f4 v[176:179], a[8:11], v[64:67], 0, v26, v43 op_sel_hi:[0,0,0] cbsz:4 blgp:4// 000000008578: D3AC6000 0002571A D3AD0CB0 8A028108
	buffer_load_dwordx4 a[72:75], v62, s[12:15], 0 offen       // 000000008588: E05C1000 8083483E
	v_mfma_scale_f32_16x16x128_f8f6f4 v[180:183], a[8:11], v[80:83], 0, v26, v43 op_sel_hi:[0,0,0] cbsz:4 blgp:4// 000000008590: D3AC7000 0002571A D3AD0CB4 8A02A108
	ds_read_b32 v136, v9 offset:8704                           // 0000000085A0: D86C2200 88000009
	ds_read_b32 v137, v9 offset:13056                          // 0000000085A8: D86C3300 89000009
	ds_read_b32 v138, v9 offset:8712                           // 0000000085B0: D86C2208 8A000009
	ds_read_b32 v139, v9 offset:13064                          // 0000000085B8: D86C3308 8B000009
	v_mfma_scale_f32_16x16x128_f8f6f4 v[184:187], a[12:15], v[64:67], 0, v26, v43 op_sel_hi:[0,0,0] cbsz:4 blgp:4// 0000000085C0: D3AC6800 0002571A D3AD0CB8 8A02810C
	buffer_load_dwordx4 a[76:79], v63, s[12:15], 0 offen       // 0000000085D0: E05C1000 80834C3F
	buffer_load_dword v31, v10, s[16:19], 0 offen offset:256   // 0000000085D8: E0501100 80041F0A
	buffer_load_dword v32, v11, s[16:19], 0 offen offset:256   // 0000000085E0: E0501100 8004200B
	v_mfma_scale_f32_16x16x128_f8f6f4 v[188:191], a[12:15], v[80:83], 0, v26, v43 op_sel_hi:[0,0,0] cbsz:4 blgp:4// 0000000085E8: D3AC7800 0002571A D3AD0CBC 8A02A10C
	ds_read_b32 v140, v9 offset:8736                           // 0000000085F8: D86C2220 8C000009
	ds_read_b32 v141, v9 offset:13088                          // 000000008600: D86C3320 8D000009
	ds_read_b32 v142, v9 offset:8744                           // 000000008608: D86C2228 8E000009
	ds_read_b32 v143, v9 offset:13096                          // 000000008610: D86C3328 8F000009
	s_waitcnt vmcnt(18)                                        // 000000008618: BF8C4F72
	v_mfma_scale_f32_16x16x128_f8f6f4 v[160:163], a[16:19], v[68:71], v[160:163], v25, v43 op_sel_hi:[0,0,0] cbsz:4 blgp:4// 00000000861C: D3AC6000 18025719 D3AD0CA0 8E828910
	buffer_load_dwordx4 a[80:83], v60, s[12:15], 0 offen offset:1024// 00000000862C: E05C1400 8083503C
	v_mfma_scale_f32_16x16x128_f8f6f4 v[164:167], a[16:19], v[84:87], v[164:167], v25, v43 op_sel_hi:[0,0,0] cbsz:4 blgp:4// 000000008634: D3AC7000 18025719 D3AD0CA4 8E92A910
	ds_write_b64 v8, v[192:193] offset:17408                   // 000000008644: D89A4400 0000C008
	ds_write_b64 v8, v[194:195] offset:26112                   // 00000000864C: D89A6600 0000C208
	v_mfma_scale_f32_16x16x128_f8f6f4 v[168:171], a[20:23], v[68:71], v[168:171], v25, v43 op_sel_hi:[0,0,0] cbsz:4 blgp:4// 000000008654: D3AC6800 18025719 D3AD0CA8 8EA28914
	buffer_load_dwordx4 a[84:87], v61, s[12:15], 0 offen offset:1024// 000000008664: E05C1400 8083543D
	v_mfma_scale_f32_16x16x128_f8f6f4 v[172:175], a[20:23], v[84:87], v[172:175], v25, v43 op_sel_hi:[0,0,0] cbsz:4 blgp:4// 00000000866C: D3AC7800 18025719 D3AD0CAC 8EB2A914
	ds_write_b64 v8, v[196:197] offset:17952                   // 00000000867C: D89A4620 0000C408
	ds_write_b64 v8, v[198:199] offset:26656                   // 000000008684: D89A6820 0000C608
	s_waitcnt vmcnt(18)                                        // 00000000868C: BF8C4F72
	v_mfma_scale_f32_16x16x128_f8f6f4 v[176:179], a[24:27], v[68:71], v[176:179], v26, v43 op_sel_hi:[0,0,0] cbsz:4 blgp:4// 000000008690: D3AC6000 1802571A D3AD0CB0 8EC28918
	buffer_load_dwordx4 a[88:91], v62, s[12:15], 0 offen offset:1024// 0000000086A0: E05C1400 8083583E
	v_mfma_scale_f32_16x16x128_f8f6f4 v[180:183], a[24:27], v[84:87], v[180:183], v26, v43 op_sel_hi:[0,0,0] cbsz:4 blgp:4// 0000000086A8: D3AC7000 1802571A D3AD0CB4 8ED2A918
	ds_write_b64 v8, v[200:201] offset:21760                   // 0000000086B8: D89A5500 0000C808
	ds_write_b64 v8, v[202:203] offset:30464                   // 0000000086C0: D89A7700 0000CA08
	v_mfma_scale_f32_16x16x128_f8f6f4 v[184:187], a[28:31], v[68:71], v[184:187], v26, v43 op_sel_hi:[0,0,0] cbsz:4 blgp:4// 0000000086C8: D3AC6800 1802571A D3AD0CB8 8EE2891C
	buffer_load_dwordx4 a[92:95], v63, s[12:15], 0 offen offset:1024// 0000000086D8: E05C1400 80835C3F
	v_mfma_scale_f32_16x16x128_f8f6f4 v[188:191], a[28:31], v[84:87], v[188:191], v26, v43 op_sel_hi:[0,0,0] cbsz:4 blgp:4// 0000000086E0: D3AC7800 1802571A D3AD0CBC 8EF2A91C
	ds_write_b64 v8, v[204:205] offset:22304                   // 0000000086F0: D89A5720 0000CC08
	ds_write_b64 v8, v[206:207] offset:31008                   // 0000000086F8: D89A7920 0000CE08
	s_waitcnt vmcnt(18)                                        // 000000008700: BF8C4F72
	v_mfma_scale_f32_16x16x128_f8f6f4 v[160:163], a[32:35], v[72:75], v[160:163], v27, v44 op_sel_hi:[0,0,0] cbsz:4 blgp:4// 000000008704: D3AC6000 0002591B D3AD0CA0 8E829120
	buffer_load_dwordx4 a[96:99], v60, s[12:15], 0 offen offset:2048// 000000008714: E05C1800 8083603C
	v_mfma_scale_f32_16x16x128_f8f6f4 v[164:167], a[32:35], v[88:91], v[164:167], v27, v44 op_sel_hi:[0,0,0] cbsz:4 blgp:4// 00000000871C: D3AC7000 0002591B D3AD0CA4 8E92B120
	v_mfma_scale_f32_16x16x128_f8f6f4 v[168:171], a[36:39], v[72:75], v[168:171], v27, v44 op_sel_hi:[0,0,0] cbsz:4 blgp:4// 00000000872C: D3AC6800 0002591B D3AD0CA8 8EA29124
	buffer_load_dwordx4 a[100:103], v61, s[12:15], 0 offen offset:2048// 00000000873C: E05C1800 8083643D
	v_mfma_scale_f32_16x16x128_f8f6f4 v[172:175], a[36:39], v[88:91], v[172:175], v27, v44 op_sel_hi:[0,0,0] cbsz:4 blgp:4// 000000008744: D3AC7800 0002591B D3AD0CAC 8EB2B124
	s_waitcnt vmcnt(18)                                        // 000000008754: BF8C4F72
	v_mfma_scale_f32_16x16x128_f8f6f4 v[176:179], a[40:43], v[72:75], v[176:179], v28, v44 op_sel_hi:[0,0,0] cbsz:4 blgp:4// 000000008758: D3AC6000 0002591C D3AD0CB0 8EC29128
	buffer_load_dwordx4 a[104:107], v62, s[12:15], 0 offen offset:2048// 000000008768: E05C1800 8083683E
	v_mfma_scale_f32_16x16x128_f8f6f4 v[180:183], a[40:43], v[88:91], v[180:183], v28, v44 op_sel_hi:[0,0,0] cbsz:4 blgp:4// 000000008770: D3AC7000 0002591C D3AD0CB4 8ED2B128
	v_mfma_scale_f32_16x16x128_f8f6f4 v[184:187], a[44:47], v[72:75], v[184:187], v28, v44 op_sel_hi:[0,0,0] cbsz:4 blgp:4// 000000008780: D3AC6800 0002591C D3AD0CB8 8EE2912C
	buffer_load_dwordx4 a[108:111], v63, s[12:15], 0 offen offset:2048// 000000008790: E05C1800 80836C3F
	v_mfma_scale_f32_16x16x128_f8f6f4 v[188:191], a[44:47], v[88:91], v[188:191], v28, v44 op_sel_hi:[0,0,0] cbsz:4 blgp:4// 000000008798: D3AC7800 0002591C D3AD0CBC 8EF2B12C
	s_waitcnt vmcnt(18)                                        // 0000000087A8: BF8C4F72
	v_mfma_scale_f32_16x16x128_f8f6f4 v[160:163], a[48:51], v[76:79], v[160:163], v27, v44 op_sel_hi:[0,0,0] cbsz:4 blgp:4// 0000000087AC: D3AC6000 1802591B D3AD0CA0 8E829930
	buffer_load_dwordx4 a[112:115], v60, s[12:15], 0 offen offset:3072// 0000000087BC: E05C1C00 8083703C
	v_mfma_scale_f32_16x16x128_f8f6f4 v[164:167], a[48:51], v[92:95], v[164:167], v27, v44 op_sel_hi:[0,0,0] cbsz:4 blgp:4// 0000000087C4: D3AC7000 1802591B D3AD0CA4 8E92B930
	v_mfma_scale_f32_16x16x128_f8f6f4 v[168:171], a[52:55], v[76:79], v[168:171], v27, v44 op_sel_hi:[0,0,0] cbsz:4 blgp:4// 0000000087D4: D3AC6800 1802591B D3AD0CA8 8EA29934
	buffer_load_dwordx4 a[116:119], v61, s[12:15], 0 offen offset:3072// 0000000087E4: E05C1C00 8083743D
	v_mfma_scale_f32_16x16x128_f8f6f4 v[172:175], a[52:55], v[92:95], v[172:175], v27, v44 op_sel_hi:[0,0,0] cbsz:4 blgp:4// 0000000087EC: D3AC7800 1802591B D3AD0CAC 8EB2B934
	s_waitcnt vmcnt(18)                                        // 0000000087FC: BF8C4F72
	v_mfma_scale_f32_16x16x128_f8f6f4 v[176:179], a[56:59], v[76:79], v[176:179], v28, v44 op_sel_hi:[0,0,0] cbsz:4 blgp:4// 000000008800: D3AC6000 1802591C D3AD0CB0 8EC29938
	buffer_load_dwordx4 a[120:123], v62, s[12:15], 0 offen offset:3072// 000000008810: E05C1C00 8083783E
	v_mfma_scale_f32_16x16x128_f8f6f4 v[180:183], a[56:59], v[92:95], v[180:183], v28, v44 op_sel_hi:[0,0,0] cbsz:4 blgp:4// 000000008818: D3AC7000 1802591C D3AD0CB4 8ED2B938
	v_mfma_scale_f32_16x16x128_f8f6f4 v[184:187], a[60:63], v[76:79], v[184:187], v28, v44 op_sel_hi:[0,0,0] cbsz:4 blgp:4// 000000008828: D3AC6800 1802591C D3AD0CB8 8EE2993C
	buffer_load_dwordx4 a[124:127], v63, s[12:15], 0 offen offset:3072// 000000008838: E05C1C00 80837C3F
	v_mfma_scale_f32_16x16x128_f8f6f4 v[188:191], a[60:63], v[92:95], v[188:191], v28, v44 op_sel_hi:[0,0,0] cbsz:4 blgp:4// 000000008840: D3AC7800 1802591C D3AD0CBC 8EF2B93C
	s_add_u32 s60, 0x200, s80                                  // 000000008850: 803C50FF 00000200
	s_cmp_lt_u32 s60, s81                                      // 000000008858: BF0A513C
	s_cselect_b32 s56, s56, 0                                  // 00000000885C: 85388038
	s_cselect_b32 s78, s78, 0                                  // 000000008860: 854E804E
	s_cselect_b32 s79, s79, 0                                  // 000000008864: 854F804F
	s_add_u32 s12, s56, s12                                    // 000000008868: 800C0C38
	s_addc_u32 s13, 0, s13                                     // 00000000886C: 820D0D80
	s_add_u32 s16, s79, s16                                    // 000000008870: 8010104F
	s_addc_u32 s17, 0, s17                                     // 000000008874: 82111180
	v_mov_b32_e32 v2, v41                                      // 000000008878: 7E040329
	v_mov_b32_e32 v3, v41                                      // 00000000887C: 7E060329
	v_pk_mul_f32 v[160:161], v[2:3], v[160:161]                // 000000008880: D3B140A0 18034102
	v_pk_mul_f32 v[162:163], v[2:3], v[162:163]                // 000000008888: D3B140A2 18034502
	v_pk_mul_f32 v[168:169], v[2:3], v[168:169]                // 000000008890: D3B140A8 18035102
	v_pk_mul_f32 v[170:171], v[2:3], v[170:171]                // 000000008898: D3B140AA 18035502
	v_pk_mul_f32 v[176:177], v[2:3], v[176:177]                // 0000000088A0: D3B140B0 18036102
	v_pk_mul_f32 v[178:179], v[2:3], v[178:179]                // 0000000088A8: D3B140B2 18036502
	v_pk_mul_f32 v[184:185], v[2:3], v[184:185]                // 0000000088B0: D3B140B8 18037102
	v_pk_mul_f32 v[186:187], v[2:3], v[186:187]                // 0000000088B8: D3B140BA 18037502
	v_mov_b32_e32 v2, v42                                      // 0000000088C0: 7E04032A
	v_mov_b32_e32 v3, v42                                      // 0000000088C4: 7E06032A
	v_pk_mul_f32 v[164:165], v[2:3], v[164:165]                // 0000000088C8: D3B140A4 18034902
	v_pk_mul_f32 v[166:167], v[2:3], v[166:167]                // 0000000088D0: D3B140A6 18034D02
	v_pk_mul_f32 v[172:173], v[2:3], v[172:173]                // 0000000088D8: D3B140AC 18035902
	v_pk_mul_f32 v[174:175], v[2:3], v[174:175]                // 0000000088E0: D3B140AE 18035D02
	v_pk_mul_f32 v[180:181], v[2:3], v[180:181]                // 0000000088E8: D3B140B4 18036902
	v_pk_mul_f32 v[182:183], v[2:3], v[182:183]                // 0000000088F0: D3B140B6 18036D02
	v_pk_mul_f32 v[188:189], v[2:3], v[188:189]                // 0000000088F8: D3B140BC 18037902
	v_pk_mul_f32 v[190:191], v[2:3], v[190:191]                // 000000008900: D3B140BE 18037D02
	v_cvt_pk_bf16_f32 v160, v160, v161                         // 000000008908: D26800A0 000343A0
	v_cvt_pk_bf16_f32 v161, v162, v163                         // 000000008910: D26800A1 000347A2
	v_cvt_pk_bf16_f32 v162, v164, v165                         // 000000008918: D26800A2 00034BA4
	v_cvt_pk_bf16_f32 v163, v166, v167                         // 000000008920: D26800A3 00034FA6
	v_cvt_pk_bf16_f32 v164, v168, v169                         // 000000008928: D26800A4 000353A8
	v_cvt_pk_bf16_f32 v165, v170, v171                         // 000000008930: D26800A5 000357AA
	v_cvt_pk_bf16_f32 v166, v172, v173                         // 000000008938: D26800A6 00035BAC
	v_cvt_pk_bf16_f32 v167, v174, v175                         // 000000008940: D26800A7 00035FAE
	v_cvt_pk_bf16_f32 v168, v176, v177                         // 000000008948: D26800A8 000363B0
	v_cvt_pk_bf16_f32 v169, v178, v179                         // 000000008950: D26800A9 000367B2
	v_cvt_pk_bf16_f32 v170, v180, v181                         // 000000008958: D26800AA 00036BB4
	v_cvt_pk_bf16_f32 v171, v182, v183                         // 000000008960: D26800AB 00036FB6
	v_cvt_pk_bf16_f32 v172, v184, v185                         // 000000008968: D26800AC 000373B8
	v_cvt_pk_bf16_f32 v173, v186, v187                         // 000000008970: D26800AD 000377BA
	v_cvt_pk_bf16_f32 v174, v188, v189                         // 000000008978: D26800AE 00037BBC
	v_cvt_pk_bf16_f32 v175, v190, v191                         // 000000008980: D26800AF 00037FBE
	s_cmp_ge_u32 s80, 0x200                                    // 000000008988: BF09FF50 00000200
	s_cselect_b32 s59, 0x200, s59                              // 000000008990: 853B3BFF 00000200
	s_setvskip s20, 0                                          // 000000008998: BF108014
	global_atomic_pk_add_bf16 v144, v128, s[8:9]               // 00000000899C: DD488000 00088090
	s_setvskip 0, 0                                            // 0000000089A4: BF108080
	s_setvskip s20, 0                                          // 0000000089A8: BF108014
	global_atomic_pk_add_bf16 v144, v129, s[8:9] offset:256    // 0000000089AC: DD488100 00088190
	s_setvskip 0, 0                                            // 0000000089B4: BF108080
	s_setvskip s20, 1                                          // 0000000089B8: BF108114
	global_atomic_pk_add_bf16 v146, v130, s[8:9]               // 0000000089BC: DD488000 00088292
	s_setvskip 0, 0                                            // 0000000089C4: BF108080
	s_setvskip s20, 1                                          // 0000000089C8: BF108114
	global_atomic_pk_add_bf16 v146, v131, s[8:9] offset:256    // 0000000089CC: DD488100 00088392
	s_setvskip 0, 0                                            // 0000000089D4: BF108080
	s_setvskip s20, 2                                          // 0000000089D8: BF108214
	global_atomic_pk_add_bf16 v148, v132, s[8:9]               // 0000000089DC: DD488000 00088494
	s_setvskip 0, 0                                            // 0000000089E4: BF108080
	s_setvskip s20, 2                                          // 0000000089E8: BF108214
	global_atomic_pk_add_bf16 v148, v133, s[8:9] offset:256    // 0000000089EC: DD488100 00088594
	s_setvskip 0, 0                                            // 0000000089F4: BF108080
	s_setvskip s20, 3                                          // 0000000089F8: BF108314
	global_atomic_pk_add_bf16 v150, v134, s[8:9]               // 0000000089FC: DD488000 00088696
	s_setvskip 0, 0                                            // 000000008A04: BF108080
	s_setvskip s20, 3                                          // 000000008A08: BF108314
	global_atomic_pk_add_bf16 v150, v135, s[8:9] offset:256    // 000000008A0C: DD488100 00088796
	s_setvskip 0, 0                                            // 000000008A14: BF108080
	s_setvskip s20, 4                                          // 000000008A18: BF108414
	global_atomic_pk_add_bf16 v152, v136, s[8:9]               // 000000008A1C: DD488000 00088898
	s_setvskip 0, 0                                            // 000000008A24: BF108080
	s_setvskip s20, 4                                          // 000000008A28: BF108414
	global_atomic_pk_add_bf16 v152, v137, s[8:9] offset:256    // 000000008A2C: DD488100 00088998
	s_setvskip 0, 0                                            // 000000008A34: BF108080
	s_setvskip s20, 5                                          // 000000008A38: BF108514
	global_atomic_pk_add_bf16 v154, v138, s[8:9]               // 000000008A3C: DD488000 00088A9A
	s_setvskip 0, 0                                            // 000000008A44: BF108080
	s_setvskip s20, 5                                          // 000000008A48: BF108514
	global_atomic_pk_add_bf16 v154, v139, s[8:9] offset:256    // 000000008A4C: DD488100 00088B9A
	s_setvskip 0, 0                                            // 000000008A54: BF108080
	s_setvskip s20, 6                                          // 000000008A58: BF108614
	global_atomic_pk_add_bf16 v156, v140, s[8:9]               // 000000008A5C: DD488000 00088C9C
	s_setvskip 0, 0                                            // 000000008A64: BF108080
	s_setvskip s20, 6                                          // 000000008A68: BF108614
	global_atomic_pk_add_bf16 v156, v141, s[8:9] offset:256    // 000000008A6C: DD488100 00088D9C
	s_setvskip 0, 0                                            // 000000008A74: BF108080
	s_setvskip s20, 7                                          // 000000008A78: BF108714
	global_atomic_pk_add_bf16 v158, v142, s[8:9]               // 000000008A7C: DD488000 00088E9E
	s_setvskip 0, 0                                            // 000000008A84: BF108080
	s_setvskip s20, 7                                          // 000000008A88: BF108714
	global_atomic_pk_add_bf16 v158, v143, s[8:9] offset:256    // 000000008A8C: DD488100 00088F9E
	s_setvskip 0, 0                                            // 000000008A94: BF108080
	s_add_u32 s8, s59, s8                                      // 000000008A98: 8008083B
	s_addc_u32 s9, 0, s9                                       // 000000008A9C: 82090980
	s_addk_i32 s80, 0x100                                      // 000000008AA0: B7500100
	s_cmp_lt_i32 s80, s81                                      // 000000008AA4: BF045150
	s_cbranch_scc0 label_0DFB                                  // 000000008AA8: BF84F610
	s_waitcnt vmcnt(14) lgkmcnt(0)                             // 000000008AAC: BF8C007E
	s_barrier                                                  // 000000008AB0: BF8A0000
	v_mfma_scale_f32_16x16x128_f8f6f4 v[192:195], a[64:67], v[64:67], 0, v29, v43 op_sel_hi:[0,0,0] cbsz:4 blgp:4// 000000008AB4: D3AC6000 0002571D D3AD0CC0 8A028140
	buffer_load_dwordx4 a[0:3], v60, s[12:15], 0 offen         // 000000008AC4: E05C1000 8083003C
	v_mfma_scale_f32_16x16x128_f8f6f4 v[196:199], a[64:67], v[80:83], 0, v29, v43 op_sel_hi:[0,0,0] cbsz:4 blgp:4// 000000008ACC: D3AC7000 0002571D D3AD0CC4 8A02A140
	ds_read_b32 v128, v9 offset:17408                          // 000000008ADC: D86C4400 80000009
	ds_read_b32 v129, v9 offset:21760                          // 000000008AE4: D86C5500 81000009
	ds_read_b32 v130, v9 offset:17416                          // 000000008AEC: D86C4408 82000009
	ds_read_b32 v131, v9 offset:21768                          // 000000008AF4: D86C5508 83000009
	v_mfma_scale_f32_16x16x128_f8f6f4 v[200:203], a[68:71], v[64:67], 0, v29, v43 op_sel_hi:[0,0,0] cbsz:4 blgp:4// 000000008AFC: D3AC6800 0002571D D3AD0CC8 8A028144
	buffer_load_dwordx4 a[4:7], v61, s[12:15], 0 offen         // 000000008B0C: E05C1000 8083043D
	buffer_load_dword v25, v10, s[16:19], 0 offen              // 000000008B14: E0501000 8004190A
	buffer_load_dword v26, v11, s[16:19], 0 offen              // 000000008B1C: E0501000 80041A0B
	buffer_load_dword v27, v10, s[16:19], 0 offen offset:256   // 000000008B24: E0501100 80041B0A
	buffer_load_dword v28, v11, s[16:19], 0 offen offset:256   // 000000008B2C: E0501100 80041C0B
	v_mfma_scale_f32_16x16x128_f8f6f4 v[204:207], a[68:71], v[80:83], 0, v29, v43 op_sel_hi:[0,0,0] cbsz:4 blgp:4// 000000008B34: D3AC7800 0002571D D3AD0CCC 8A02A144
	ds_read_b32 v132, v9 offset:17440                          // 000000008B44: D86C4420 84000009
	ds_read_b32 v133, v9 offset:21792                          // 000000008B4C: D86C5520 85000009
	ds_read_b32 v134, v9 offset:17448                          // 000000008B54: D86C4428 86000009
	ds_read_b32 v135, v9 offset:21800                          // 000000008B5C: D86C5528 87000009
	s_waitcnt vmcnt(18)                                        // 000000008B64: BF8C4F72
	v_mfma_scale_f32_16x16x128_f8f6f4 v[208:211], a[72:75], v[64:67], 0, v30, v43 op_sel_hi:[0,0,0] cbsz:4 blgp:4// 000000008B68: D3AC6000 0002571E D3AD0CD0 8A028148
	buffer_load_dwordx4 a[8:11], v62, s[12:15], 0 offen        // 000000008B78: E05C1000 8083083E
	v_mfma_scale_f32_16x16x128_f8f6f4 v[212:215], a[72:75], v[80:83], 0, v30, v43 op_sel_hi:[0,0,0] cbsz:4 blgp:4// 000000008B80: D3AC7000 0002571E D3AD0CD4 8A02A148
	ds_read_b32 v136, v9 offset:26112                          // 000000008B90: D86C6600 88000009
	ds_read_b32 v137, v9 offset:30464                          // 000000008B98: D86C7700 89000009
	ds_read_b32 v138, v9 offset:26120                          // 000000008BA0: D86C6608 8A000009
	ds_read_b32 v139, v9 offset:30472                          // 000000008BA8: D86C7708 8B000009
	v_mfma_scale_f32_16x16x128_f8f6f4 v[216:219], a[76:79], v[64:67], 0, v30, v43 op_sel_hi:[0,0,0] cbsz:4 blgp:4// 000000008BB0: D3AC6800 0002571E D3AD0CD8 8A02814C
	buffer_load_dwordx4 a[12:15], v63, s[12:15], 0 offen       // 000000008BC0: E05C1000 80830C3F
	buffer_load_dword v27, v10, s[16:19], 0 offen offset:256   // 000000008BC8: E0501100 80041B0A
	buffer_load_dword v28, v11, s[16:19], 0 offen offset:256   // 000000008BD0: E0501100 80041C0B
	v_mfma_scale_f32_16x16x128_f8f6f4 v[220:223], a[76:79], v[80:83], 0, v30, v43 op_sel_hi:[0,0,0] cbsz:4 blgp:4// 000000008BD8: D3AC7800 0002571E D3AD0CDC 8A02A14C
	ds_read_b32 v140, v9 offset:26144                          // 000000008BE8: D86C6620 8C000009
	ds_read_b32 v141, v9 offset:30496                          // 000000008BF0: D86C7720 8D000009
	ds_read_b32 v142, v9 offset:26152                          // 000000008BF8: D86C6628 8E000009
	ds_read_b32 v143, v9 offset:30504                          // 000000008C00: D86C7728 8F000009
	s_waitcnt vmcnt(18)                                        // 000000008C08: BF8C4F72
	v_mfma_scale_f32_16x16x128_f8f6f4 v[192:195], a[80:83], v[68:71], v[192:195], v29, v43 op_sel_hi:[0,0,0] cbsz:4 blgp:4// 000000008C0C: D3AC6000 1802571D D3AD0CC0 8F028950
	buffer_load_dwordx4 a[16:19], v60, s[12:15], 0 offen offset:1024// 000000008C1C: E05C1400 8083103C
	v_mfma_scale_f32_16x16x128_f8f6f4 v[196:199], a[80:83], v[84:87], v[196:199], v29, v43 op_sel_hi:[0,0,0] cbsz:4 blgp:4// 000000008C24: D3AC7000 1802571D D3AD0CC4 8F12A950
	ds_write_b64 v8, v[160:161]                                // 000000008C34: D89A0000 0000A008
	ds_write_b64 v8, v[162:163] offset:8704                    // 000000008C3C: D89A2200 0000A208
	v_mfma_scale_f32_16x16x128_f8f6f4 v[200:203], a[84:87], v[68:71], v[200:203], v29, v43 op_sel_hi:[0,0,0] cbsz:4 blgp:4// 000000008C44: D3AC6800 1802571D D3AD0CC8 8F228954
	buffer_load_dwordx4 a[20:23], v61, s[12:15], 0 offen offset:1024// 000000008C54: E05C1400 8083143D
	v_mfma_scale_f32_16x16x128_f8f6f4 v[204:207], a[84:87], v[84:87], v[204:207], v29, v43 op_sel_hi:[0,0,0] cbsz:4 blgp:4// 000000008C5C: D3AC7800 1802571D D3AD0CCC 8F32A954
	ds_write_b64 v8, v[164:165] offset:544                     // 000000008C6C: D89A0220 0000A408
	ds_write_b64 v8, v[166:167] offset:9248                    // 000000008C74: D89A2420 0000A608
	s_waitcnt vmcnt(18)                                        // 000000008C7C: BF8C4F72
	v_mfma_scale_f32_16x16x128_f8f6f4 v[208:211], a[88:91], v[68:71], v[208:211], v30, v43 op_sel_hi:[0,0,0] cbsz:4 blgp:4// 000000008C80: D3AC6000 1802571E D3AD0CD0 8F428958
	buffer_load_dwordx4 a[24:27], v62, s[12:15], 0 offen offset:1024// 000000008C90: E05C1400 8083183E
	v_mfma_scale_f32_16x16x128_f8f6f4 v[212:215], a[88:91], v[84:87], v[212:215], v30, v43 op_sel_hi:[0,0,0] cbsz:4 blgp:4// 000000008C98: D3AC7000 1802571E D3AD0CD4 8F52A958
	ds_write_b64 v8, v[168:169] offset:4352                    // 000000008CA8: D89A1100 0000A808
	ds_write_b64 v8, v[170:171] offset:13056                   // 000000008CB0: D89A3300 0000AA08
	v_mfma_scale_f32_16x16x128_f8f6f4 v[216:219], a[92:95], v[68:71], v[216:219], v30, v43 op_sel_hi:[0,0,0] cbsz:4 blgp:4// 000000008CB8: D3AC6800 1802571E D3AD0CD8 8F62895C
	buffer_load_dwordx4 a[28:31], v63, s[12:15], 0 offen offset:1024// 000000008CC8: E05C1400 80831C3F
	v_mfma_scale_f32_16x16x128_f8f6f4 v[220:223], a[92:95], v[84:87], v[220:223], v30, v43 op_sel_hi:[0,0,0] cbsz:4 blgp:4// 000000008CD0: D3AC7800 1802571E D3AD0CDC 8F72A95C
	ds_write_b64 v8, v[172:173] offset:4896                    // 000000008CE0: D89A1320 0000AC08
	ds_write_b64 v8, v[174:175] offset:13600                   // 000000008CE8: D89A3520 0000AE08
	s_waitcnt vmcnt(18)                                        // 000000008CF0: BF8C4F72
	v_mfma_scale_f32_16x16x128_f8f6f4 v[192:195], a[96:99], v[72:75], v[192:195], v31, v44 op_sel_hi:[0,0,0] cbsz:4 blgp:4// 000000008CF4: D3AC6000 0002591F D3AD0CC0 8F029160
	buffer_load_dwordx4 a[32:35], v60, s[12:15], 0 offen offset:2048// 000000008D04: E05C1800 8083203C
	v_mfma_scale_f32_16x16x128_f8f6f4 v[196:199], a[96:99], v[88:91], v[196:199], v31, v44 op_sel_hi:[0,0,0] cbsz:4 blgp:4// 000000008D0C: D3AC7000 0002591F D3AD0CC4 8F12B160
	v_mfma_scale_f32_16x16x128_f8f6f4 v[200:203], a[100:103], v[72:75], v[200:203], v31, v44 op_sel_hi:[0,0,0] cbsz:4 blgp:4// 000000008D1C: D3AC6800 0002591F D3AD0CC8 8F229164
	buffer_load_dwordx4 a[36:39], v61, s[12:15], 0 offen offset:2048// 000000008D2C: E05C1800 8083243D
	v_mfma_scale_f32_16x16x128_f8f6f4 v[204:207], a[100:103], v[88:91], v[204:207], v31, v44 op_sel_hi:[0,0,0] cbsz:4 blgp:4// 000000008D34: D3AC7800 0002591F D3AD0CCC 8F32B164
	s_waitcnt vmcnt(18)                                        // 000000008D44: BF8C4F72
	v_mfma_scale_f32_16x16x128_f8f6f4 v[208:211], a[104:107], v[72:75], v[208:211], v32, v44 op_sel_hi:[0,0,0] cbsz:4 blgp:4// 000000008D48: D3AC6000 00025920 D3AD0CD0 8F429168
	buffer_load_dwordx4 a[40:43], v62, s[12:15], 0 offen offset:2048// 000000008D58: E05C1800 8083283E
	v_mfma_scale_f32_16x16x128_f8f6f4 v[212:215], a[104:107], v[88:91], v[212:215], v32, v44 op_sel_hi:[0,0,0] cbsz:4 blgp:4// 000000008D60: D3AC7000 00025920 D3AD0CD4 8F52B168
	v_mfma_scale_f32_16x16x128_f8f6f4 v[216:219], a[108:111], v[72:75], v[216:219], v32, v44 op_sel_hi:[0,0,0] cbsz:4 blgp:4// 000000008D70: D3AC6800 00025920 D3AD0CD8 8F62916C
	buffer_load_dwordx4 a[44:47], v63, s[12:15], 0 offen offset:2048// 000000008D80: E05C1800 80832C3F
	v_mfma_scale_f32_16x16x128_f8f6f4 v[220:223], a[108:111], v[88:91], v[220:223], v32, v44 op_sel_hi:[0,0,0] cbsz:4 blgp:4// 000000008D88: D3AC7800 00025920 D3AD0CDC 8F72B16C
	s_waitcnt vmcnt(18)                                        // 000000008D98: BF8C4F72
	v_mfma_scale_f32_16x16x128_f8f6f4 v[192:195], a[112:115], v[76:79], v[192:195], v31, v44 op_sel_hi:[0,0,0] cbsz:4 blgp:4// 000000008D9C: D3AC6000 1802591F D3AD0CC0 8F029970
	buffer_load_dwordx4 a[48:51], v60, s[12:15], 0 offen offset:3072// 000000008DAC: E05C1C00 8083303C
	v_mfma_scale_f32_16x16x128_f8f6f4 v[196:199], a[112:115], v[92:95], v[196:199], v31, v44 op_sel_hi:[0,0,0] cbsz:4 blgp:4// 000000008DB4: D3AC7000 1802591F D3AD0CC4 8F12B970
	v_mfma_scale_f32_16x16x128_f8f6f4 v[200:203], a[116:119], v[76:79], v[200:203], v31, v44 op_sel_hi:[0,0,0] cbsz:4 blgp:4// 000000008DC4: D3AC6800 1802591F D3AD0CC8 8F229974
	buffer_load_dwordx4 a[52:55], v61, s[12:15], 0 offen offset:3072// 000000008DD4: E05C1C00 8083343D
	v_mfma_scale_f32_16x16x128_f8f6f4 v[204:207], a[116:119], v[92:95], v[204:207], v31, v44 op_sel_hi:[0,0,0] cbsz:4 blgp:4// 000000008DDC: D3AC7800 1802591F D3AD0CCC 8F32B974
	s_waitcnt vmcnt(18)                                        // 000000008DEC: BF8C4F72
	v_mfma_scale_f32_16x16x128_f8f6f4 v[208:211], a[120:123], v[76:79], v[208:211], v32, v44 op_sel_hi:[0,0,0] cbsz:4 blgp:4// 000000008DF0: D3AC6000 18025920 D3AD0CD0 8F429978
	buffer_load_dwordx4 a[56:59], v62, s[12:15], 0 offen offset:3072// 000000008E00: E05C1C00 8083383E
	v_mfma_scale_f32_16x16x128_f8f6f4 v[212:215], a[120:123], v[92:95], v[212:215], v32, v44 op_sel_hi:[0,0,0] cbsz:4 blgp:4// 000000008E08: D3AC7000 18025920 D3AD0CD4 8F52B978
	v_mfma_scale_f32_16x16x128_f8f6f4 v[216:219], a[124:127], v[76:79], v[216:219], v32, v44 op_sel_hi:[0,0,0] cbsz:4 blgp:4// 000000008E18: D3AC6800 18025920 D3AD0CD8 8F62997C
	buffer_load_dwordx4 a[60:63], v63, s[12:15], 0 offen offset:3072// 000000008E28: E05C1C00 80833C3F
	v_mfma_scale_f32_16x16x128_f8f6f4 v[220:223], a[124:127], v[92:95], v[220:223], v32, v44 op_sel_hi:[0,0,0] cbsz:4 blgp:4// 000000008E30: D3AC7800 18025920 D3AD0CDC 8F72B97C
	s_add_u32 s60, 0x200, s80                                  // 000000008E40: 803C50FF 00000200
	s_cmp_lt_u32 s60, s81                                      // 000000008E48: BF0A513C
	s_cselect_b32 s56, s56, 0                                  // 000000008E4C: 85388038
	s_cselect_b32 s78, s78, 0                                  // 000000008E50: 854E804E
	s_cselect_b32 s79, s79, 0                                  // 000000008E54: 854F804F
	s_add_u32 s12, s56, s12                                    // 000000008E58: 800C0C38
	s_addc_u32 s13, 0, s13                                     // 000000008E5C: 820D0D80
	s_add_u32 s16, s79, s16                                    // 000000008E60: 8010104F
	s_addc_u32 s17, 0, s17                                     // 000000008E64: 82111180
	v_mov_b32_e32 v2, v41                                      // 000000008E68: 7E040329
	v_mov_b32_e32 v3, v41                                      // 000000008E6C: 7E060329
	v_pk_mul_f32 v[192:193], v[2:3], v[192:193]                // 000000008E70: D3B140C0 18038102
	v_pk_mul_f32 v[194:195], v[2:3], v[194:195]                // 000000008E78: D3B140C2 18038502
	v_pk_mul_f32 v[200:201], v[2:3], v[200:201]                // 000000008E80: D3B140C8 18039102
	v_pk_mul_f32 v[202:203], v[2:3], v[202:203]                // 000000008E88: D3B140CA 18039502
	v_pk_mul_f32 v[208:209], v[2:3], v[208:209]                // 000000008E90: D3B140D0 1803A102
	v_pk_mul_f32 v[210:211], v[2:3], v[210:211]                // 000000008E98: D3B140D2 1803A502
	v_pk_mul_f32 v[216:217], v[2:3], v[216:217]                // 000000008EA0: D3B140D8 1803B102
	v_pk_mul_f32 v[218:219], v[2:3], v[218:219]                // 000000008EA8: D3B140DA 1803B502
	v_mov_b32_e32 v2, v42                                      // 000000008EB0: 7E04032A
	v_mov_b32_e32 v3, v42                                      // 000000008EB4: 7E06032A
	v_pk_mul_f32 v[196:197], v[2:3], v[196:197]                // 000000008EB8: D3B140C4 18038902
	v_pk_mul_f32 v[198:199], v[2:3], v[198:199]                // 000000008EC0: D3B140C6 18038D02
	v_pk_mul_f32 v[204:205], v[2:3], v[204:205]                // 000000008EC8: D3B140CC 18039902
	v_pk_mul_f32 v[206:207], v[2:3], v[206:207]                // 000000008ED0: D3B140CE 18039D02
	v_pk_mul_f32 v[212:213], v[2:3], v[212:213]                // 000000008ED8: D3B140D4 1803A902
	v_pk_mul_f32 v[214:215], v[2:3], v[214:215]                // 000000008EE0: D3B140D6 1803AD02
	v_pk_mul_f32 v[220:221], v[2:3], v[220:221]                // 000000008EE8: D3B140DC 1803B902
	v_pk_mul_f32 v[222:223], v[2:3], v[222:223]                // 000000008EF0: D3B140DE 1803BD02
	v_cvt_pk_bf16_f32 v192, v192, v193                         // 000000008EF8: D26800C0 000383C0
	v_cvt_pk_bf16_f32 v193, v194, v195                         // 000000008F00: D26800C1 000387C2
	v_cvt_pk_bf16_f32 v194, v196, v197                         // 000000008F08: D26800C2 00038BC4
	v_cvt_pk_bf16_f32 v195, v198, v199                         // 000000008F10: D26800C3 00038FC6
	v_cvt_pk_bf16_f32 v196, v200, v201                         // 000000008F18: D26800C4 000393C8
	v_cvt_pk_bf16_f32 v197, v202, v203                         // 000000008F20: D26800C5 000397CA
	v_cvt_pk_bf16_f32 v198, v204, v205                         // 000000008F28: D26800C6 00039BCC
	v_cvt_pk_bf16_f32 v199, v206, v207                         // 000000008F30: D26800C7 00039FCE
	v_cvt_pk_bf16_f32 v200, v208, v209                         // 000000008F38: D26800C8 0003A3D0
	v_cvt_pk_bf16_f32 v201, v210, v211                         // 000000008F40: D26800C9 0003A7D2
	v_cvt_pk_bf16_f32 v202, v212, v213                         // 000000008F48: D26800CA 0003ABD4
	v_cvt_pk_bf16_f32 v203, v214, v215                         // 000000008F50: D26800CB 0003AFD6
	v_cvt_pk_bf16_f32 v204, v216, v217                         // 000000008F58: D26800CC 0003B3D8
	v_cvt_pk_bf16_f32 v205, v218, v219                         // 000000008F60: D26800CD 0003B7DA
	v_cvt_pk_bf16_f32 v206, v220, v221                         // 000000008F68: D26800CE 0003BBDC
	v_cvt_pk_bf16_f32 v207, v222, v223                         // 000000008F70: D26800CF 0003BFDE
	s_cmp_ge_u32 s80, 0x200                                    // 000000008F78: BF09FF50 00000200
	s_cselect_b32 s59, 0x200, s59                              // 000000008F80: 853B3BFF 00000200
	s_setvskip s20, 0                                          // 000000008F88: BF108014
	global_atomic_pk_add_bf16 v144, v128, s[8:9]               // 000000008F8C: DD488000 00088090
	s_setvskip 0, 0                                            // 000000008F94: BF108080
	s_setvskip s20, 0                                          // 000000008F98: BF108014
	global_atomic_pk_add_bf16 v144, v129, s[8:9] offset:256    // 000000008F9C: DD488100 00088190
	s_setvskip 0, 0                                            // 000000008FA4: BF108080
	s_setvskip s20, 1                                          // 000000008FA8: BF108114
	global_atomic_pk_add_bf16 v146, v130, s[8:9]               // 000000008FAC: DD488000 00088292
	s_setvskip 0, 0                                            // 000000008FB4: BF108080
	s_setvskip s20, 1                                          // 000000008FB8: BF108114
	global_atomic_pk_add_bf16 v146, v131, s[8:9] offset:256    // 000000008FBC: DD488100 00088392
	s_setvskip 0, 0                                            // 000000008FC4: BF108080
	s_setvskip s20, 2                                          // 000000008FC8: BF108214
	global_atomic_pk_add_bf16 v148, v132, s[8:9]               // 000000008FCC: DD488000 00088494
	s_setvskip 0, 0                                            // 000000008FD4: BF108080
	s_setvskip s20, 2                                          // 000000008FD8: BF108214
	global_atomic_pk_add_bf16 v148, v133, s[8:9] offset:256    // 000000008FDC: DD488100 00088594
	s_setvskip 0, 0                                            // 000000008FE4: BF108080
	s_setvskip s20, 3                                          // 000000008FE8: BF108314
	global_atomic_pk_add_bf16 v150, v134, s[8:9]               // 000000008FEC: DD488000 00088696
	s_setvskip 0, 0                                            // 000000008FF4: BF108080
	s_setvskip s20, 3                                          // 000000008FF8: BF108314
	global_atomic_pk_add_bf16 v150, v135, s[8:9] offset:256    // 000000008FFC: DD488100 00088796
	s_setvskip 0, 0                                            // 000000009004: BF108080
	s_setvskip s20, 4                                          // 000000009008: BF108414
	global_atomic_pk_add_bf16 v152, v136, s[8:9]               // 00000000900C: DD488000 00088898
	s_setvskip 0, 0                                            // 000000009014: BF108080
	s_setvskip s20, 4                                          // 000000009018: BF108414
	global_atomic_pk_add_bf16 v152, v137, s[8:9] offset:256    // 00000000901C: DD488100 00088998
	s_setvskip 0, 0                                            // 000000009024: BF108080
	s_setvskip s20, 5                                          // 000000009028: BF108514
	global_atomic_pk_add_bf16 v154, v138, s[8:9]               // 00000000902C: DD488000 00088A9A
	s_setvskip 0, 0                                            // 000000009034: BF108080
	s_setvskip s20, 5                                          // 000000009038: BF108514
	global_atomic_pk_add_bf16 v154, v139, s[8:9] offset:256    // 00000000903C: DD488100 00088B9A
	s_setvskip 0, 0                                            // 000000009044: BF108080
	s_setvskip s20, 6                                          // 000000009048: BF108614
	global_atomic_pk_add_bf16 v156, v140, s[8:9]               // 00000000904C: DD488000 00088C9C
	s_setvskip 0, 0                                            // 000000009054: BF108080
	s_setvskip s20, 6                                          // 000000009058: BF108614
	global_atomic_pk_add_bf16 v156, v141, s[8:9] offset:256    // 00000000905C: DD488100 00088D9C
	s_setvskip 0, 0                                            // 000000009064: BF108080
	s_setvskip s20, 7                                          // 000000009068: BF108714
	global_atomic_pk_add_bf16 v158, v142, s[8:9]               // 00000000906C: DD488000 00088E9E
	s_setvskip 0, 0                                            // 000000009074: BF108080
	s_setvskip s20, 7                                          // 000000009078: BF108714
	global_atomic_pk_add_bf16 v158, v143, s[8:9] offset:256    // 00000000907C: DD488100 00088F9E
	s_setvskip 0, 0                                            // 000000009084: BF108080
	s_add_u32 s8, s59, s8                                      // 000000009088: 8008083B
	s_addc_u32 s9, 0, s9                                       // 00000000908C: 82090980
	s_addk_i32 s80, 0x100                                      // 000000009090: B7500100
	s_cmp_lt_i32 s80, s81                                      // 000000009094: BF045150
	s_cbranch_scc0 label_0DFB                                  // 000000009098: BF84F494
	s_branch label_166F                                        // 00000000909C: BF82FD07

00000000000090a0 <label_1968>:
	s_cmp_ge_u32 s59, 0                                        // 0000000090A0: BF09803B
	s_cselect_b32 s59, 0x200, s59                              // 0000000090A4: 853B3BFF 00000200
	s_waitcnt lgkmcnt(0)                                       // 0000000090AC: BF8CC07F
	s_barrier                                                  // 0000000090B0: BF8A0000
	s_cmp_eq_u32 s64, 0x100                                    // 0000000090B4: BF06FF40 00000100
	s_cbranch_scc0 label_19E4                                  // 0000000090BC: BF840074
	ds_write_b64 v8, v[160:161]                                // 0000000090C0: D89A0000 0000A008
	ds_write_b64 v8, v[162:163] offset:8704                    // 0000000090C8: D89A2200 0000A208
	ds_write_b64 v8, v[164:165] offset:544                     // 0000000090D0: D89A0220 0000A408
	ds_write_b64 v8, v[166:167] offset:9248                    // 0000000090D8: D89A2420 0000A608
	ds_write_b64 v8, v[168:169] offset:4352                    // 0000000090E0: D89A1100 0000A808
	ds_write_b64 v8, v[170:171] offset:13056                   // 0000000090E8: D89A3300 0000AA08
	ds_write_b64 v8, v[172:173] offset:4896                    // 0000000090F0: D89A1320 0000AC08
	ds_write_b64 v8, v[174:175] offset:13600                   // 0000000090F8: D89A3520 0000AE08
	s_waitcnt lgkmcnt(0)                                       // 000000009100: BF8CC07F
	s_barrier                                                  // 000000009104: BF8A0000
	ds_read_b32 v128, v9                                       // 000000009108: D86C0000 80000009
	ds_read_b32 v129, v9 offset:4352                           // 000000009110: D86C1100 81000009
	ds_read_b32 v130, v9 offset:8                              // 000000009118: D86C0008 82000009
	ds_read_b32 v131, v9 offset:4360                           // 000000009120: D86C1108 83000009
	ds_read_b32 v132, v9 offset:32                             // 000000009128: D86C0020 84000009
	ds_read_b32 v133, v9 offset:4384                           // 000000009130: D86C1120 85000009
	ds_read_b32 v134, v9 offset:40                             // 000000009138: D86C0028 86000009
	ds_read_b32 v135, v9 offset:4392                           // 000000009140: D86C1128 87000009
	ds_read_b32 v136, v9 offset:8704                           // 000000009148: D86C2200 88000009
	ds_read_b32 v137, v9 offset:13056                          // 000000009150: D86C3300 89000009
	ds_read_b32 v138, v9 offset:8712                           // 000000009158: D86C2208 8A000009
	ds_read_b32 v139, v9 offset:13064                          // 000000009160: D86C3308 8B000009
	ds_read_b32 v140, v9 offset:8736                           // 000000009168: D86C2220 8C000009
	ds_read_b32 v141, v9 offset:13088                          // 000000009170: D86C3320 8D000009
	ds_read_b32 v142, v9 offset:8744                           // 000000009178: D86C2228 8E000009
	ds_read_b32 v143, v9 offset:13096                          // 000000009180: D86C3328 8F000009
	s_waitcnt lgkmcnt(0)                                       // 000000009188: BF8CC07F
	s_setvskip s20, 0                                          // 00000000918C: BF108014
	global_atomic_pk_add_bf16 v144, v128, s[8:9]               // 000000009190: DD488000 00088090
	s_setvskip 0, 0                                            // 000000009198: BF108080
	s_setvskip s20, 0                                          // 00000000919C: BF108014
	global_atomic_pk_add_bf16 v144, v129, s[8:9] offset:256    // 0000000091A0: DD488100 00088190
	s_setvskip 0, 0                                            // 0000000091A8: BF108080
	s_setvskip s20, 1                                          // 0000000091AC: BF108114
	global_atomic_pk_add_bf16 v146, v130, s[8:9]               // 0000000091B0: DD488000 00088292
	s_setvskip 0, 0                                            // 0000000091B8: BF108080
	s_setvskip s20, 1                                          // 0000000091BC: BF108114
	global_atomic_pk_add_bf16 v146, v131, s[8:9] offset:256    // 0000000091C0: DD488100 00088392
	s_setvskip 0, 0                                            // 0000000091C8: BF108080
	s_setvskip s20, 2                                          // 0000000091CC: BF108214
	global_atomic_pk_add_bf16 v148, v132, s[8:9]               // 0000000091D0: DD488000 00088494
	s_setvskip 0, 0                                            // 0000000091D8: BF108080
	s_setvskip s20, 2                                          // 0000000091DC: BF108214
	global_atomic_pk_add_bf16 v148, v133, s[8:9] offset:256    // 0000000091E0: DD488100 00088594
	s_setvskip 0, 0                                            // 0000000091E8: BF108080
	s_setvskip s20, 3                                          // 0000000091EC: BF108314
	global_atomic_pk_add_bf16 v150, v134, s[8:9]               // 0000000091F0: DD488000 00088696
	s_setvskip 0, 0                                            // 0000000091F8: BF108080
	s_setvskip s20, 3                                          // 0000000091FC: BF108314
	global_atomic_pk_add_bf16 v150, v135, s[8:9] offset:256    // 000000009200: DD488100 00088796
	s_setvskip 0, 0                                            // 000000009208: BF108080
	s_setvskip s20, 4                                          // 00000000920C: BF108414
	global_atomic_pk_add_bf16 v152, v136, s[8:9]               // 000000009210: DD488000 00088898
	s_setvskip 0, 0                                            // 000000009218: BF108080
	s_setvskip s20, 4                                          // 00000000921C: BF108414
	global_atomic_pk_add_bf16 v152, v137, s[8:9] offset:256    // 000000009220: DD488100 00088998
	s_setvskip 0, 0                                            // 000000009228: BF108080
	s_setvskip s20, 5                                          // 00000000922C: BF108514
	global_atomic_pk_add_bf16 v154, v138, s[8:9]               // 000000009230: DD488000 00088A9A
	s_setvskip 0, 0                                            // 000000009238: BF108080
	s_setvskip s20, 5                                          // 00000000923C: BF108514
	global_atomic_pk_add_bf16 v154, v139, s[8:9] offset:256    // 000000009240: DD488100 00088B9A
	s_setvskip 0, 0                                            // 000000009248: BF108080
	s_setvskip s20, 6                                          // 00000000924C: BF108614
	global_atomic_pk_add_bf16 v156, v140, s[8:9]               // 000000009250: DD488000 00088C9C
	s_setvskip 0, 0                                            // 000000009258: BF108080
	s_setvskip s20, 6                                          // 00000000925C: BF108614
	global_atomic_pk_add_bf16 v156, v141, s[8:9] offset:256    // 000000009260: DD488100 00088D9C
	s_setvskip 0, 0                                            // 000000009268: BF108080
	s_setvskip s20, 7                                          // 00000000926C: BF108714
	global_atomic_pk_add_bf16 v158, v142, s[8:9]               // 000000009270: DD488000 00088E9E
	s_setvskip 0, 0                                            // 000000009278: BF108080
	s_setvskip s20, 7                                          // 00000000927C: BF108714
	global_atomic_pk_add_bf16 v158, v143, s[8:9] offset:256    // 000000009280: DD488100 00088F9E
	s_setvskip 0, 0                                            // 000000009288: BF108080
	s_branch label_1ABA                                        // 00000000928C: BF8200D6

0000000000009290 <label_19E4>:
	ds_read_b32 v128, v9                                       // 000000009290: D86C0000 80000009
	ds_read_b32 v129, v9 offset:4352                           // 000000009298: D86C1100 81000009
	ds_read_b32 v130, v9 offset:8                              // 0000000092A0: D86C0008 82000009
	ds_read_b32 v131, v9 offset:4360                           // 0000000092A8: D86C1108 83000009
	ds_read_b32 v132, v9 offset:32                             // 0000000092B0: D86C0020 84000009
	ds_read_b32 v133, v9 offset:4384                           // 0000000092B8: D86C1120 85000009
	ds_read_b32 v134, v9 offset:40                             // 0000000092C0: D86C0028 86000009
	ds_read_b32 v135, v9 offset:4392                           // 0000000092C8: D86C1128 87000009
	ds_read_b32 v136, v9 offset:8704                           // 0000000092D0: D86C2200 88000009
	ds_read_b32 v137, v9 offset:13056                          // 0000000092D8: D86C3300 89000009
	ds_read_b32 v138, v9 offset:8712                           // 0000000092E0: D86C2208 8A000009
	ds_read_b32 v139, v9 offset:13064                          // 0000000092E8: D86C3308 8B000009
	ds_read_b32 v140, v9 offset:8736                           // 0000000092F0: D86C2220 8C000009
	ds_read_b32 v141, v9 offset:13088                          // 0000000092F8: D86C3320 8D000009
	ds_read_b32 v142, v9 offset:8744                           // 000000009300: D86C2228 8E000009
	ds_read_b32 v143, v9 offset:13096                          // 000000009308: D86C3328 8F000009
	s_waitcnt lgkmcnt(0)                                       // 000000009310: BF8CC07F
	s_setvskip s20, 0                                          // 000000009314: BF108014
	global_atomic_pk_add_bf16 v144, v128, s[8:9]               // 000000009318: DD488000 00088090
	s_setvskip 0, 0                                            // 000000009320: BF108080
	s_setvskip s20, 0                                          // 000000009324: BF108014
	global_atomic_pk_add_bf16 v144, v129, s[8:9] offset:256    // 000000009328: DD488100 00088190
	s_setvskip 0, 0                                            // 000000009330: BF108080
	s_setvskip s20, 1                                          // 000000009334: BF108114
	global_atomic_pk_add_bf16 v146, v130, s[8:9]               // 000000009338: DD488000 00088292
	s_setvskip 0, 0                                            // 000000009340: BF108080
	s_setvskip s20, 1                                          // 000000009344: BF108114
	global_atomic_pk_add_bf16 v146, v131, s[8:9] offset:256    // 000000009348: DD488100 00088392
	s_setvskip 0, 0                                            // 000000009350: BF108080
	s_setvskip s20, 2                                          // 000000009354: BF108214
	global_atomic_pk_add_bf16 v148, v132, s[8:9]               // 000000009358: DD488000 00088494
	s_setvskip 0, 0                                            // 000000009360: BF108080
	s_setvskip s20, 2                                          // 000000009364: BF108214
	global_atomic_pk_add_bf16 v148, v133, s[8:9] offset:256    // 000000009368: DD488100 00088594
	s_setvskip 0, 0                                            // 000000009370: BF108080
	s_setvskip s20, 3                                          // 000000009374: BF108314
	global_atomic_pk_add_bf16 v150, v134, s[8:9]               // 000000009378: DD488000 00088696
	s_setvskip 0, 0                                            // 000000009380: BF108080
	s_setvskip s20, 3                                          // 000000009384: BF108314
	global_atomic_pk_add_bf16 v150, v135, s[8:9] offset:256    // 000000009388: DD488100 00088796
	s_setvskip 0, 0                                            // 000000009390: BF108080
	s_setvskip s20, 4                                          // 000000009394: BF108414
	global_atomic_pk_add_bf16 v152, v136, s[8:9]               // 000000009398: DD488000 00088898
	s_setvskip 0, 0                                            // 0000000093A0: BF108080
	s_setvskip s20, 4                                          // 0000000093A4: BF108414
	global_atomic_pk_add_bf16 v152, v137, s[8:9] offset:256    // 0000000093A8: DD488100 00088998
	s_setvskip 0, 0                                            // 0000000093B0: BF108080
	s_setvskip s20, 5                                          // 0000000093B4: BF108514
	global_atomic_pk_add_bf16 v154, v138, s[8:9]               // 0000000093B8: DD488000 00088A9A
	s_setvskip 0, 0                                            // 0000000093C0: BF108080
	s_setvskip s20, 5                                          // 0000000093C4: BF108514
	global_atomic_pk_add_bf16 v154, v139, s[8:9] offset:256    // 0000000093C8: DD488100 00088B9A
	s_setvskip 0, 0                                            // 0000000093D0: BF108080
	s_setvskip s20, 6                                          // 0000000093D4: BF108614
	global_atomic_pk_add_bf16 v156, v140, s[8:9]               // 0000000093D8: DD488000 00088C9C
	s_setvskip 0, 0                                            // 0000000093E0: BF108080
	s_setvskip s20, 6                                          // 0000000093E4: BF108614
	global_atomic_pk_add_bf16 v156, v141, s[8:9] offset:256    // 0000000093E8: DD488100 00088D9C
	s_setvskip 0, 0                                            // 0000000093F0: BF108080
	s_setvskip s20, 7                                          // 0000000093F4: BF108714
	global_atomic_pk_add_bf16 v158, v142, s[8:9]               // 0000000093F8: DD488000 00088E9E
	s_setvskip 0, 0                                            // 000000009400: BF108080
	s_setvskip s20, 7                                          // 000000009404: BF108714
	global_atomic_pk_add_bf16 v158, v143, s[8:9] offset:256    // 000000009408: DD488100 00088F9E
	s_setvskip 0, 0                                            // 000000009410: BF108080
	s_add_u32 s8, s59, s8                                      // 000000009414: 8008083B
	s_addc_u32 s9, 0, s9                                       // 000000009418: 82090980
	ds_write_b64 v8, v[192:193] offset:17408                   // 00000000941C: D89A4400 0000C008
	ds_write_b64 v8, v[194:195] offset:26112                   // 000000009424: D89A6600 0000C208
	ds_write_b64 v8, v[196:197] offset:17952                   // 00000000942C: D89A4620 0000C408
	ds_write_b64 v8, v[198:199] offset:26656                   // 000000009434: D89A6820 0000C608
	ds_write_b64 v8, v[200:201] offset:21760                   // 00000000943C: D89A5500 0000C808
	ds_write_b64 v8, v[202:203] offset:30464                   // 000000009444: D89A7700 0000CA08
	ds_write_b64 v8, v[204:205] offset:22304                   // 00000000944C: D89A5720 0000CC08
	ds_write_b64 v8, v[206:207] offset:31008                   // 000000009454: D89A7920 0000CE08
	s_waitcnt lgkmcnt(0)                                       // 00000000945C: BF8CC07F
	s_barrier                                                  // 000000009460: BF8A0000
	ds_read_b32 v128, v9 offset:17408                          // 000000009464: D86C4400 80000009
	ds_read_b32 v129, v9 offset:21760                          // 00000000946C: D86C5500 81000009
	ds_read_b32 v130, v9 offset:17416                          // 000000009474: D86C4408 82000009
	ds_read_b32 v131, v9 offset:21768                          // 00000000947C: D86C5508 83000009
	ds_read_b32 v132, v9 offset:17440                          // 000000009484: D86C4420 84000009
	ds_read_b32 v133, v9 offset:21792                          // 00000000948C: D86C5520 85000009
	ds_read_b32 v134, v9 offset:17448                          // 000000009494: D86C4428 86000009
	ds_read_b32 v135, v9 offset:21800                          // 00000000949C: D86C5528 87000009
	ds_read_b32 v136, v9 offset:26112                          // 0000000094A4: D86C6600 88000009
	ds_read_b32 v137, v9 offset:30464                          // 0000000094AC: D86C7700 89000009
	ds_read_b32 v138, v9 offset:26120                          // 0000000094B4: D86C6608 8A000009
	ds_read_b32 v139, v9 offset:30472                          // 0000000094BC: D86C7708 8B000009
	ds_read_b32 v140, v9 offset:26144                          // 0000000094C4: D86C6620 8C000009
	ds_read_b32 v141, v9 offset:30496                          // 0000000094CC: D86C7720 8D000009
	ds_read_b32 v142, v9 offset:26152                          // 0000000094D4: D86C6628 8E000009
	ds_read_b32 v143, v9 offset:30504                          // 0000000094DC: D86C7728 8F000009
	s_waitcnt lgkmcnt(0)                                       // 0000000094E4: BF8CC07F
	s_setvskip s20, 0                                          // 0000000094E8: BF108014
	global_atomic_pk_add_bf16 v144, v128, s[8:9]               // 0000000094EC: DD488000 00088090
	s_setvskip 0, 0                                            // 0000000094F4: BF108080
	s_setvskip s20, 0                                          // 0000000094F8: BF108014
	global_atomic_pk_add_bf16 v144, v129, s[8:9] offset:256    // 0000000094FC: DD488100 00088190
	s_setvskip 0, 0                                            // 000000009504: BF108080
	s_setvskip s20, 1                                          // 000000009508: BF108114
	global_atomic_pk_add_bf16 v146, v130, s[8:9]               // 00000000950C: DD488000 00088292
	s_setvskip 0, 0                                            // 000000009514: BF108080
	s_setvskip s20, 1                                          // 000000009518: BF108114
	global_atomic_pk_add_bf16 v146, v131, s[8:9] offset:256    // 00000000951C: DD488100 00088392
	s_setvskip 0, 0                                            // 000000009524: BF108080
	s_setvskip s20, 2                                          // 000000009528: BF108214
	global_atomic_pk_add_bf16 v148, v132, s[8:9]               // 00000000952C: DD488000 00088494
	s_setvskip 0, 0                                            // 000000009534: BF108080
	s_setvskip s20, 2                                          // 000000009538: BF108214
	global_atomic_pk_add_bf16 v148, v133, s[8:9] offset:256    // 00000000953C: DD488100 00088594
	s_setvskip 0, 0                                            // 000000009544: BF108080
	s_setvskip s20, 3                                          // 000000009548: BF108314
	global_atomic_pk_add_bf16 v150, v134, s[8:9]               // 00000000954C: DD488000 00088696
	s_setvskip 0, 0                                            // 000000009554: BF108080
	s_setvskip s20, 3                                          // 000000009558: BF108314
	global_atomic_pk_add_bf16 v150, v135, s[8:9] offset:256    // 00000000955C: DD488100 00088796
	s_setvskip 0, 0                                            // 000000009564: BF108080
	s_setvskip s20, 4                                          // 000000009568: BF108414
	global_atomic_pk_add_bf16 v152, v136, s[8:9]               // 00000000956C: DD488000 00088898
	s_setvskip 0, 0                                            // 000000009574: BF108080
	s_setvskip s20, 4                                          // 000000009578: BF108414
	global_atomic_pk_add_bf16 v152, v137, s[8:9] offset:256    // 00000000957C: DD488100 00088998
	s_setvskip 0, 0                                            // 000000009584: BF108080
	s_setvskip s20, 5                                          // 000000009588: BF108514
	global_atomic_pk_add_bf16 v154, v138, s[8:9]               // 00000000958C: DD488000 00088A9A
	s_setvskip 0, 0                                            // 000000009594: BF108080
	s_setvskip s20, 5                                          // 000000009598: BF108514
	global_atomic_pk_add_bf16 v154, v139, s[8:9] offset:256    // 00000000959C: DD488100 00088B9A
	s_setvskip 0, 0                                            // 0000000095A4: BF108080
	s_setvskip s20, 6                                          // 0000000095A8: BF108614
	global_atomic_pk_add_bf16 v156, v140, s[8:9]               // 0000000095AC: DD488000 00088C9C
	s_setvskip 0, 0                                            // 0000000095B4: BF108080
	s_setvskip s20, 6                                          // 0000000095B8: BF108614
	global_atomic_pk_add_bf16 v156, v141, s[8:9] offset:256    // 0000000095BC: DD488100 00088D9C
	s_setvskip 0, 0                                            // 0000000095C4: BF108080
	s_setvskip s20, 7                                          // 0000000095C8: BF108714
	global_atomic_pk_add_bf16 v158, v142, s[8:9]               // 0000000095CC: DD488000 00088E9E
	s_setvskip 0, 0                                            // 0000000095D4: BF108080
	s_setvskip s20, 7                                          // 0000000095D8: BF108714
	global_atomic_pk_add_bf16 v158, v143, s[8:9] offset:256    // 0000000095DC: DD488100 00088F9E
	s_setvskip 0, 0                                            // 0000000095E4: BF108080

00000000000095e8 <label_1ABA>:
	s_waitcnt vmcnt(0) expcnt(0) lgkmcnt(0)                    // 0000000095E8: BF8C0000
	s_endpgm                                                   // 0000000095EC: BF810000
